;; amdgpu-corpus repo=ROCm/rocFFT kind=compiled arch=gfx1201 opt=O3
	.text
	.amdgcn_target "amdgcn-amd-amdhsa--gfx1201"
	.amdhsa_code_object_version 6
	.protected	bluestein_single_fwd_len495_dim1_dp_op_CI_CI ; -- Begin function bluestein_single_fwd_len495_dim1_dp_op_CI_CI
	.globl	bluestein_single_fwd_len495_dim1_dp_op_CI_CI
	.p2align	8
	.type	bluestein_single_fwd_len495_dim1_dp_op_CI_CI,@function
bluestein_single_fwd_len495_dim1_dp_op_CI_CI: ; @bluestein_single_fwd_len495_dim1_dp_op_CI_CI
; %bb.0:
	s_load_b128 s[8:11], s[0:1], 0x28
	v_mul_u32_u24_e32 v1, 0x4a8, v0
	s_mov_b32 s2, exec_lo
	v_mov_b32_e32 v113, 0
	s_delay_alu instid0(VALU_DEP_2) | instskip(NEXT) | instid1(VALU_DEP_1)
	v_lshrrev_b32_e32 v1, 16, v1
	v_add_nc_u32_e32 v112, ttmp9, v1
	s_wait_kmcnt 0x0
	s_delay_alu instid0(VALU_DEP_1)
	v_cmpx_gt_u64_e64 s[8:9], v[112:113]
	s_cbranch_execz .LBB0_23
; %bb.1:
	s_clause 0x1
	s_load_b64 s[12:13], s[0:1], 0x0
	s_load_b64 s[8:9], s[0:1], 0x38
	v_mul_lo_u16 v1, v1, 55
	s_delay_alu instid0(VALU_DEP_1) | instskip(NEXT) | instid1(VALU_DEP_1)
	v_sub_nc_u16 v0, v0, v1
	v_and_b32_e32 v174, 0xffff, v0
	v_cmp_gt_u16_e32 vcc_lo, 45, v0
	s_delay_alu instid0(VALU_DEP_2)
	v_lshlrev_b32_e32 v173, 4, v174
	s_and_saveexec_b32 s3, vcc_lo
	s_cbranch_execz .LBB0_3
; %bb.2:
	s_load_b64 s[4:5], s[0:1], 0x18
	s_wait_kmcnt 0x0
	s_load_b128 s[4:7], s[4:5], 0x0
	s_wait_kmcnt 0x0
	v_mad_co_u64_u32 v[8:9], null, s4, v174, 0
	v_mad_co_u64_u32 v[0:1], null, s6, v112, 0
	s_delay_alu instid0(VALU_DEP_2) | instskip(NEXT) | instid1(VALU_DEP_1)
	v_mov_b32_e32 v2, v9
	v_mad_co_u64_u32 v[3:4], null, s7, v112, v[1:2]
	s_delay_alu instid0(VALU_DEP_1) | instskip(SKIP_2) | instid1(VALU_DEP_2)
	v_mov_b32_e32 v1, v3
	v_mad_co_u64_u32 v[4:5], null, s5, v174, v[2:3]
	s_mul_u64 s[4:5], s[4:5], 0x2d0
	v_lshlrev_b64_e32 v[10:11], 4, v[0:1]
	s_delay_alu instid0(VALU_DEP_2) | instskip(SKIP_4) | instid1(VALU_DEP_1)
	v_mov_b32_e32 v9, v4
	s_clause 0x1
	global_load_b128 v[0:3], v173, s[12:13]
	global_load_b128 v[4:7], v173, s[12:13] offset:720
	v_add_co_u32 v18, s2, s10, v10
	v_add_co_ci_u32_e64 v19, s2, s11, v11, s2
	v_lshlrev_b64_e32 v[16:17], 4, v[8:9]
	s_clause 0x1
	global_load_b128 v[8:11], v173, s[12:13] offset:1440
	global_load_b128 v[12:15], v173, s[12:13] offset:2160
	v_add_co_u32 v32, s2, v18, v16
	s_wait_alu 0xf1ff
	v_add_co_ci_u32_e64 v33, s2, v19, v17, s2
	s_clause 0x1
	global_load_b128 v[16:19], v173, s[12:13] offset:2880
	global_load_b128 v[20:23], v173, s[12:13] offset:3600
	s_wait_alu 0xfffe
	v_add_co_u32 v36, s2, v32, s4
	s_wait_alu 0xf1ff
	v_add_co_ci_u32_e64 v37, s2, s5, v33, s2
	s_clause 0x1
	global_load_b128 v[24:27], v173, s[12:13] offset:4320
	global_load_b128 v[28:31], v173, s[12:13] offset:5040
	v_add_co_u32 v40, s2, v36, s4
	s_wait_alu 0xf1ff
	v_add_co_ci_u32_e64 v41, s2, s5, v37, s2
	s_clause 0x1
	global_load_b128 v[32:35], v[32:33], off
	global_load_b128 v[36:39], v[36:37], off
	v_add_co_u32 v44, s2, v40, s4
	s_wait_alu 0xf1ff
	v_add_co_ci_u32_e64 v45, s2, s5, v41, s2
	s_delay_alu instid0(VALU_DEP_2) | instskip(SKIP_1) | instid1(VALU_DEP_2)
	v_add_co_u32 v48, s2, v44, s4
	s_wait_alu 0xf1ff
	v_add_co_ci_u32_e64 v49, s2, s5, v45, s2
	s_clause 0x1
	global_load_b128 v[40:43], v[40:41], off
	global_load_b128 v[44:47], v[44:45], off
	v_add_co_u32 v52, s2, v48, s4
	s_wait_alu 0xf1ff
	v_add_co_ci_u32_e64 v53, s2, s5, v49, s2
	global_load_b128 v[48:51], v[48:49], off
	v_add_co_u32 v56, s2, v52, s4
	s_wait_alu 0xf1ff
	v_add_co_ci_u32_e64 v57, s2, s5, v53, s2
	;; [unrolled: 4-line block ×6, first 2 shown]
	s_clause 0x1
	global_load_b128 v[68:71], v173, s[12:13] offset:5760
	global_load_b128 v[72:75], v173, s[12:13] offset:6480
	global_load_b128 v[76:79], v[76:77], off
	global_load_b128 v[80:83], v173, s[12:13] offset:7200
	global_load_b128 v[84:87], v[84:85], off
	s_wait_loadcnt 0xd
	v_mul_f64_e32 v[88:89], v[34:35], v[2:3]
	v_mul_f64_e32 v[2:3], v[32:33], v[2:3]
	s_wait_loadcnt 0xc
	v_mul_f64_e32 v[90:91], v[38:39], v[6:7]
	v_mul_f64_e32 v[6:7], v[36:37], v[6:7]
	;; [unrolled: 3-line block ×11, first 2 shown]
	v_fma_f64 v[30:31], v[32:33], v[0:1], v[88:89]
	v_fma_f64 v[32:33], v[34:35], v[0:1], -v[2:3]
	v_fma_f64 v[0:1], v[36:37], v[4:5], v[90:91]
	v_fma_f64 v[2:3], v[38:39], v[4:5], -v[6:7]
	;; [unrolled: 2-line block ×11, first 2 shown]
	ds_store_b128 v173, v[30:33]
	ds_store_b128 v173, v[0:3] offset:720
	ds_store_b128 v173, v[4:7] offset:1440
	;; [unrolled: 1-line block ×10, first 2 shown]
.LBB0_3:
	s_or_b32 exec_lo, exec_lo, s3
	s_clause 0x1
	s_load_b64 s[4:5], s[0:1], 0x20
	s_load_b64 s[2:3], s[0:1], 0x8
	global_wb scope:SCOPE_SE
	s_wait_dscnt 0x0
	s_wait_kmcnt 0x0
	s_barrier_signal -1
	s_barrier_wait -1
	global_inv scope:SCOPE_SE
                                        ; implicit-def: $vgpr8_vgpr9
                                        ; implicit-def: $vgpr32_vgpr33
                                        ; implicit-def: $vgpr40_vgpr41
                                        ; implicit-def: $vgpr44_vgpr45
                                        ; implicit-def: $vgpr36_vgpr37
                                        ; implicit-def: $vgpr28_vgpr29
                                        ; implicit-def: $vgpr24_vgpr25
                                        ; implicit-def: $vgpr20_vgpr21
                                        ; implicit-def: $vgpr16_vgpr17
                                        ; implicit-def: $vgpr12_vgpr13
                                        ; implicit-def: $vgpr4_vgpr5
	s_and_saveexec_b32 s0, vcc_lo
	s_cbranch_execz .LBB0_5
; %bb.4:
	ds_load_b128 v[8:11], v173
	ds_load_b128 v[32:35], v173 offset:720
	ds_load_b128 v[40:43], v173 offset:1440
	ds_load_b128 v[44:47], v173 offset:2160
	ds_load_b128 v[36:39], v173 offset:2880
	ds_load_b128 v[28:31], v173 offset:3600
	ds_load_b128 v[24:27], v173 offset:4320
	ds_load_b128 v[20:23], v173 offset:5040
	ds_load_b128 v[16:19], v173 offset:5760
	ds_load_b128 v[12:15], v173 offset:6480
	ds_load_b128 v[4:7], v173 offset:7200
.LBB0_5:
	s_wait_alu 0xfffe
	s_or_b32 exec_lo, exec_lo, s0
	s_wait_dscnt 0x0
	v_add_f64_e64 v[123:124], v[34:35], -v[6:7]
	v_add_f64_e64 v[54:55], v[32:33], -v[4:5]
	s_mov_b32 s0, 0xf8bb580b
	s_mov_b32 s10, 0x8eee2c13
	s_mov_b32 s1, 0xbfe14ced
	s_mov_b32 s11, 0xbfed1bb4
	v_add_f64_e32 v[52:53], v[32:33], v[4:5]
	v_add_f64_e32 v[125:126], v[34:35], v[6:7]
	v_add_f64_e64 v[127:128], v[42:43], -v[14:15]
	v_add_f64_e64 v[56:57], v[40:41], -v[12:13]
	s_mov_b32 s16, 0x8764f0ba
	s_mov_b32 s6, 0xd9c712b6
	s_mov_b32 s14, 0xbb3a28a1
	s_mov_b32 s17, 0x3feaeb8c
	s_mov_b32 s7, 0x3fda9628
	s_mov_b32 s15, 0xbfe82f19
	v_add_f64_e32 v[62:63], v[40:41], v[12:13]
	v_add_f64_e32 v[129:130], v[42:43], v[14:15]
	v_add_f64_e64 v[106:107], v[46:47], -v[18:19]
	v_add_f64_e64 v[48:49], v[44:45], -v[16:17]
	s_mov_b32 s18, 0x7f775887
	s_mov_b32 s20, 0x43842ef
	;; [unrolled: 10-line block ×3, first 2 shown]
	s_mov_b32 s23, 0xbfc2375f
	s_mov_b32 s29, 0xbfeeb42a
	;; [unrolled: 1-line block ×4, first 2 shown]
	v_add_f64_e32 v[121:122], v[38:39], v[22:23]
	v_add_f64_e64 v[113:114], v[30:31], -v[26:27]
	s_wait_alu 0xfffe
	v_mul_f64_e32 v[86:87], s[0:1], v[123:124]
	v_mul_f64_e32 v[98:99], s[0:1], v[54:55]
	;; [unrolled: 1-line block ×4, first 2 shown]
	s_mov_b32 s31, 0xbfd207e7
	s_mov_b32 s35, 0x3fe14ced
	;; [unrolled: 1-line block ×4, first 2 shown]
	v_mul_f64_e32 v[78:79], s[10:11], v[127:128]
	v_mul_f64_e32 v[82:83], s[10:11], v[56:57]
	;; [unrolled: 1-line block ×4, first 2 shown]
	v_add_f64_e32 v[119:120], v[30:31], v[26:27]
	v_mul_lo_u16 v175, v174, 11
	global_wb scope:SCOPE_SE
	s_barrier_signal -1
	s_barrier_wait -1
	global_inv scope:SCOPE_SE
	v_mul_f64_e32 v[90:91], s[20:21], v[106:107]
	v_mul_f64_e32 v[100:101], s[20:21], v[48:49]
	;; [unrolled: 1-line block ×8, first 2 shown]
	v_fma_f64 v[0:1], v[52:53], s[16:17], v[86:87]
	v_fma_f64 v[2:3], v[125:126], s[16:17], -v[98:99]
	v_fma_f64 v[60:61], v[52:53], s[6:7], v[108:109]
	v_fma_f64 v[64:65], v[125:126], s[6:7], -v[115:116]
	;; [unrolled: 2-line block ×6, first 2 shown]
	v_fma_f64 v[143:144], v[121:122], s[18:19], -v[92:93]
	v_fma_f64 v[147:148], v[121:122], s[22:23], -v[102:103]
	v_add_f64_e32 v[0:1], v[8:9], v[0:1]
	v_add_f64_e32 v[2:3], v[10:11], v[2:3]
	;; [unrolled: 1-line block ×5, first 2 shown]
	v_add_f64_e64 v[60:61], v[28:29], -v[24:25]
	v_add_f64_e32 v[0:1], v[66:67], v[0:1]
	v_add_f64_e32 v[2:3], v[68:69], v[2:3]
	;; [unrolled: 1-line block ×5, first 2 shown]
	v_mul_f64_e32 v[72:73], s[30:31], v[113:114]
	v_mul_f64_e32 v[74:75], s[30:31], v[60:61]
	;; [unrolled: 1-line block ×4, first 2 shown]
	v_fma_f64 v[141:142], v[64:65], s[18:19], v[84:85]
	v_fma_f64 v[145:146], v[64:65], s[22:23], v[96:97]
	v_add_f64_e32 v[0:1], v[133:134], v[0:1]
	v_add_f64_e32 v[2:3], v[135:136], v[2:3]
	;; [unrolled: 1-line block ×4, first 2 shown]
	v_fma_f64 v[133:134], v[66:67], s[28:29], v[72:73]
	v_fma_f64 v[135:136], v[119:120], s[28:29], -v[74:75]
	v_fma_f64 v[137:138], v[66:67], s[16:17], v[76:77]
	v_fma_f64 v[139:140], v[119:120], s[16:17], -v[80:81]
	v_add_f64_e32 v[0:1], v[141:142], v[0:1]
	v_add_f64_e32 v[2:3], v[143:144], v[2:3]
	v_add_f64_e32 v[68:69], v[145:146], v[68:69]
	v_add_f64_e32 v[70:71], v[147:148], v[70:71]
	s_delay_alu instid0(VALU_DEP_4) | instskip(NEXT) | instid1(VALU_DEP_4)
	v_add_f64_e32 v[0:1], v[133:134], v[0:1]
	v_add_f64_e32 v[2:3], v[135:136], v[2:3]
	s_delay_alu instid0(VALU_DEP_4) | instskip(NEXT) | instid1(VALU_DEP_4)
	v_add_f64_e32 v[68:69], v[137:138], v[68:69]
	v_add_f64_e32 v[70:71], v[139:140], v[70:71]
	s_and_saveexec_b32 s33, vcc_lo
	s_cbranch_execz .LBB0_7
; %bb.6:
	v_add_f64_e32 v[34:35], v[10:11], v[34:35]
	v_add_f64_e32 v[32:33], v[8:9], v[32:33]
	v_mul_f64_e32 v[133:134], s[6:7], v[52:53]
	v_mul_f64_e32 v[135:136], s[6:7], v[125:126]
	;; [unrolled: 1-line block ×4, first 2 shown]
	s_mov_b32 s37, 0x3fe82f19
	s_mov_b32 s36, s14
	v_mul_f64_e32 v[141:142], s[6:7], v[129:130]
	v_mul_f64_e32 v[143:144], s[18:19], v[62:63]
	;; [unrolled: 1-line block ×10, first 2 shown]
	s_mov_b32 s39, 0x3fed1bb4
	s_mov_b32 s38, s10
	v_mul_f64_e32 v[151:152], s[22:23], v[131:132]
	v_mul_f64_e32 v[153:154], s[28:29], v[50:51]
	;; [unrolled: 1-line block ×16, first 2 shown]
	v_add_f64_e32 v[34:35], v[34:35], v[42:43]
	v_add_f64_e32 v[32:33], v[32:33], v[40:41]
	v_mul_f64_e32 v[42:43], s[16:17], v[125:126]
	v_mul_f64_e32 v[40:41], s[16:17], v[52:53]
	v_add_f64_e32 v[115:116], v[115:116], v[135:136]
	v_add_f64_e64 v[108:109], v[133:134], -v[108:109]
	v_fma_f64 v[194:195], v[54:55], s[36:37], v[137:138]
	v_fma_f64 v[137:138], v[54:55], s[14:15], v[137:138]
	v_fma_f64 v[133:134], v[52:53], s[22:23], -v[149:150]
	v_add_f64_e64 v[88:89], v[143:144], -v[88:89]
	v_add_f64_e32 v[94:95], v[94:95], v[145:146]
	v_add_f64_e32 v[82:83], v[82:83], v[141:142]
	v_fma_f64 v[200:201], v[56:57], s[30:31], v[129:130]
	v_add_f64_e64 v[78:79], v[139:140], -v[78:79]
	v_fma_f64 v[198:199], v[62:63], s[22:23], v[167:168]
	v_fma_f64 v[167:168], v[62:63], s[22:23], -v[167:168]
	v_add_f64_e32 v[100:101], v[100:101], v[151:152]
	v_add_f64_e64 v[104:105], v[153:154], -v[104:105]
	v_add_f64_e32 v[110:111], v[110:111], v[155:156]
	v_fma_f64 v[145:146], v[48:49], s[34:35], v[186:187]
	v_fma_f64 v[153:154], v[50:51], s[18:19], -v[188:189]
	v_add_f64_e64 v[90:91], v[147:148], -v[90:91]
	v_add_f64_e64 v[84:85], v[157:158], -v[84:85]
	v_add_f64_e32 v[74:75], v[74:75], v[171:172]
	v_add_f64_e64 v[76:77], v[176:177], -v[76:77]
	v_add_f64_e64 v[72:73], v[169:170], -v[72:73]
	v_add_f64_e32 v[34:35], v[34:35], v[46:47]
	v_add_f64_e32 v[32:33], v[32:33], v[44:45]
	v_mul_f64_e32 v[44:45], s[28:29], v[125:126]
	v_mul_f64_e32 v[125:126], s[22:23], v[125:126]
	;; [unrolled: 1-line block ×4, first 2 shown]
	v_add_f64_e32 v[42:43], v[98:99], v[42:43]
	v_mul_f64_e32 v[98:99], s[38:39], v[106:107]
	v_add_f64_e32 v[115:116], v[10:11], v[115:116]
	v_add_f64_e32 v[108:109], v[8:9], v[108:109]
	v_add_f64_e32 v[137:138], v[10:11], v[137:138]
	v_add_f64_e32 v[133:134], v[8:9], v[133:134]
	v_add_f64_e32 v[141:142], v[10:11], v[194:195]
	v_add_f64_e32 v[34:35], v[34:35], v[38:39]
	v_add_f64_e32 v[32:33], v[32:33], v[36:37]
	v_fma_f64 v[190:191], v[54:55], s[24:25], v[44:45]
	v_fma_f64 v[196:197], v[54:55], s[20:21], v[125:126]
	;; [unrolled: 1-line block ×3, first 2 shown]
	v_fma_f64 v[135:136], v[52:53], s[18:19], -v[123:124]
	v_fma_f64 v[44:45], v[54:55], s[30:31], v[44:45]
	v_fma_f64 v[46:47], v[52:53], s[28:29], -v[46:47]
	v_fma_f64 v[123:124], v[52:53], s[18:19], v[123:124]
	v_fma_f64 v[54:55], v[54:55], s[26:27], v[125:126]
	;; [unrolled: 1-line block ×5, first 2 shown]
	v_mul_f64_e32 v[36:37], s[18:19], v[121:122]
	v_mul_f64_e32 v[38:39], s[22:23], v[64:65]
	v_add_f64_e32 v[94:95], v[94:95], v[115:116]
	v_add_f64_e32 v[88:89], v[88:89], v[108:109]
	v_fma_f64 v[147:148], v[50:51], s[6:7], v[98:99]
	v_add_f64_e32 v[30:31], v[34:35], v[30:31]
	v_add_f64_e32 v[28:29], v[32:33], v[28:29]
	v_add_f64_e64 v[32:33], v[40:41], -v[86:87]
	v_mul_f64_e32 v[34:35], s[0:1], v[106:107]
	v_fma_f64 v[106:107], v[56:57], s[0:1], v[159:160]
	v_fma_f64 v[159:160], v[62:63], s[16:17], -v[161:162]
	v_fma_f64 v[161:162], v[56:57], s[20:21], v[165:166]
	v_fma_f64 v[165:166], v[56:57], s[26:27], v[165:166]
	;; [unrolled: 1-line block ×3, first 2 shown]
	v_add_f64_e32 v[143:144], v[10:11], v[196:197]
	v_fma_f64 v[129:130], v[62:63], s[28:29], v[127:128]
	v_fma_f64 v[62:63], v[62:63], s[28:29], -v[127:128]
	v_add_f64_e32 v[127:128], v[10:11], v[190:191]
	v_add_f64_e32 v[139:140], v[8:9], v[192:193]
	;; [unrolled: 1-line block ×9, first 2 shown]
	v_mul_f64_e32 v[86:87], s[28:29], v[121:122]
	v_mul_f64_e32 v[42:43], s[38:39], v[117:118]
	;; [unrolled: 1-line block ×3, first 2 shown]
	v_add_f64_e64 v[38:39], v[38:39], -v[96:97]
	v_add_f64_e32 v[88:89], v[104:105], v[88:89]
	v_add_f64_e32 v[36:37], v[92:93], v[36:37]
	;; [unrolled: 1-line block ×5, first 2 shown]
	v_mul_f64_e32 v[28:29], s[30:31], v[117:118]
	v_mul_f64_e32 v[30:31], s[16:17], v[121:122]
	;; [unrolled: 1-line block ×3, first 2 shown]
	v_fma_f64 v[117:118], v[48:49], s[36:37], v[184:185]
	v_fma_f64 v[121:122], v[48:49], s[14:15], v[184:185]
	;; [unrolled: 1-line block ×5, first 2 shown]
	v_add_f64_e32 v[56:57], v[56:57], v[143:144]
	v_fma_f64 v[131:132], v[50:51], s[18:19], v[188:189]
	v_fma_f64 v[151:152], v[50:51], s[16:17], v[34:35]
	v_fma_f64 v[34:35], v[50:51], s[16:17], -v[34:35]
	v_fma_f64 v[50:51], v[50:51], s[6:7], -v[98:99]
	v_add_f64_e32 v[98:99], v[106:107], v[127:128]
	v_add_f64_e32 v[106:107], v[125:126], v[139:140]
	;; [unrolled: 1-line block ×12, first 2 shown]
	v_mul_f64_e32 v[82:83], s[38:39], v[113:114]
	v_fma_f64 v[123:124], v[58:59], s[24:25], v[86:87]
	v_fma_f64 v[86:87], v[58:59], s[30:31], v[86:87]
	;; [unrolled: 1-line block ×3, first 2 shown]
	v_fma_f64 v[42:43], v[64:65], s[6:7], -v[42:43]
	v_add_f64_e32 v[38:39], v[38:39], v[88:89]
	v_add_f64_e32 v[22:23], v[26:27], v[22:23]
	;; [unrolled: 1-line block ×4, first 2 shown]
	v_mul_f64_e32 v[24:25], s[6:7], v[119:120]
	v_mul_f64_e32 v[26:27], s[18:19], v[119:120]
	;; [unrolled: 1-line block ×3, first 2 shown]
	v_fma_f64 v[113:114], v[58:59], s[10:11], v[182:183]
	v_fma_f64 v[119:120], v[58:59], s[38:39], v[182:183]
	;; [unrolled: 1-line block ×4, first 2 shown]
	v_add_f64_e32 v[58:59], v[102:103], v[163:164]
	v_add_f64_e32 v[48:49], v[48:49], v[56:57]
	v_add_f64_e32 v[56:57], v[110:111], v[94:95]
	v_fma_f64 v[135:136], v[64:65], s[16:17], v[32:33]
	v_fma_f64 v[32:33], v[64:65], s[16:17], -v[32:33]
	v_fma_f64 v[129:130], v[64:65], s[28:29], v[28:29]
	v_fma_f64 v[28:29], v[64:65], s[28:29], -v[28:29]
	v_add_f64_e32 v[96:97], v[131:132], v[106:107]
	v_add_f64_e32 v[102:103], v[184:185], v[127:128]
	;; [unrolled: 1-line block ×15, first 2 shown]
	v_fma_f64 v[20:21], v[60:61], s[26:27], v[180:181]
	v_fma_f64 v[90:91], v[60:61], s[20:21], v[180:181]
	;; [unrolled: 1-line block ×7, first 2 shown]
	v_fma_f64 v[60:61], v[66:67], s[18:19], -v[78:79]
	v_add_f64_e32 v[78:79], v[80:81], v[178:179]
	v_add_f64_e32 v[30:31], v[30:31], v[48:49]
	;; [unrolled: 1-line block ×3, first 2 shown]
	v_fma_f64 v[22:23], v[66:67], s[22:23], v[40:41]
	v_fma_f64 v[40:41], v[66:67], s[22:23], -v[40:41]
	v_fma_f64 v[80:81], v[66:67], s[6:7], v[82:83]
	v_fma_f64 v[66:67], v[66:67], s[6:7], -v[82:83]
	v_add_f64_e32 v[82:83], v[92:93], v[96:97]
	v_add_f64_e32 v[86:87], v[86:87], v[102:103]
	;; [unrolled: 1-line block ×30, first 2 shown]
	v_and_b32_e32 v40, 0xffff, v175
	s_delay_alu instid0(VALU_DEP_1)
	v_lshlrev_b32_e32 v40, 4, v40
	v_add_f64_e32 v[6:7], v[56:57], v[6:7]
	v_add_f64_e32 v[4:5], v[58:59], v[4:5]
	;; [unrolled: 1-line block ×3, first 2 shown]
	ds_store_b128 v40, v[28:31] offset:32
	ds_store_b128 v40, v[24:27] offset:48
	;; [unrolled: 1-line block ×8, first 2 shown]
	ds_store_b128 v40, v[4:7]
	ds_store_b128 v40, v[36:39] offset:16
	ds_store_b128 v40, v[0:3] offset:160
.LBB0_7:
	s_or_b32 exec_lo, exec_lo, s33
	v_and_b32_e32 v4, 0xff, v174
	s_load_b128 s[4:7], s[4:5], 0x0
	global_wb scope:SCOPE_SE
	s_wait_dscnt 0x0
	s_wait_kmcnt 0x0
	s_barrier_signal -1
	s_barrier_wait -1
	v_mul_lo_u16 v4, 0x75, v4
	global_inv scope:SCOPE_SE
	s_mov_b32 s0, 0x8c811c17
	s_mov_b32 s14, 0xa2cf5039
	s_mov_b32 s1, 0x3fef838b
	v_lshrrev_b16 v4, 8, v4
	s_mov_b32 s15, 0x3fe8836f
	s_mov_b32 s11, 0x3fe491b7
	;; [unrolled: 1-line block ×4, first 2 shown]
	v_sub_nc_u16 v5, v174, v4
	s_mov_b32 s17, 0xbfee11f6
	s_delay_alu instid0(VALU_DEP_1) | instskip(NEXT) | instid1(VALU_DEP_1)
	v_lshrrev_b16 v5, 1, v5
	v_and_b32_e32 v5, 0x7f, v5
	s_delay_alu instid0(VALU_DEP_1) | instskip(NEXT) | instid1(VALU_DEP_1)
	v_add_nc_u16 v4, v5, v4
	v_lshrrev_b16 v125, 3, v4
	s_delay_alu instid0(VALU_DEP_1) | instskip(NEXT) | instid1(VALU_DEP_1)
	v_mul_lo_u16 v4, v125, 11
	v_sub_nc_u16 v4, v174, v4
	s_delay_alu instid0(VALU_DEP_1) | instskip(NEXT) | instid1(VALU_DEP_1)
	v_and_b32_e32 v126, 0xff, v4
	v_lshlrev_b32_e32 v4, 7, v126
	s_clause 0x7
	global_load_b128 v[28:31], v4, s[2:3]
	global_load_b128 v[40:43], v4, s[2:3] offset:112
	global_load_b128 v[36:39], v4, s[2:3] offset:16
	;; [unrolled: 1-line block ×7, first 2 shown]
	ds_load_b128 v[8:11], v173 offset:880
	ds_load_b128 v[16:19], v173 offset:7040
	;; [unrolled: 1-line block ×7, first 2 shown]
	s_wait_loadcnt_dscnt 0x706
	v_mul_f64_e32 v[64:65], v[10:11], v[30:31]
	v_mul_f64_e32 v[66:67], v[8:9], v[30:31]
	s_wait_loadcnt_dscnt 0x605
	v_mul_f64_e32 v[72:73], v[18:19], v[42:43]
	v_mul_f64_e32 v[74:75], v[16:17], v[42:43]
	;; [unrolled: 3-line block ×3, first 2 shown]
	s_wait_loadcnt_dscnt 0x403
	v_mul_f64_e32 v[80:81], v[26:27], v[34:35]
	s_wait_loadcnt_dscnt 0x302
	v_mul_f64_e32 v[82:83], v[54:55], v[50:51]
	v_mul_f64_e32 v[84:85], v[24:25], v[34:35]
	;; [unrolled: 1-line block ×3, first 2 shown]
	s_wait_loadcnt_dscnt 0x201
	v_mul_f64_e32 v[88:89], v[58:59], v[46:47]
	v_mul_f64_e32 v[90:91], v[56:57], v[46:47]
	v_fma_f64 v[64:65], v[8:9], v[28:29], -v[64:65]
	v_fma_f64 v[66:67], v[10:11], v[28:29], v[66:67]
	v_fma_f64 v[16:17], v[16:17], v[40:41], -v[72:73]
	v_fma_f64 v[18:19], v[18:19], v[40:41], v[74:75]
	;; [unrolled: 2-line block ×3, first 2 shown]
	v_fma_f64 v[24:25], v[24:25], v[32:33], -v[80:81]
	v_fma_f64 v[52:53], v[52:53], v[48:49], -v[82:83]
	v_fma_f64 v[26:27], v[26:27], v[32:33], v[84:85]
	v_fma_f64 v[54:55], v[54:55], v[48:49], v[86:87]
	v_fma_f64 v[56:57], v[56:57], v[44:45], -v[88:89]
	v_fma_f64 v[58:59], v[58:59], v[44:45], v[90:91]
	ds_load_b128 v[8:11], v173 offset:5280
	s_wait_loadcnt_dscnt 0x101
	v_mul_f64_e32 v[72:73], v[62:63], v[14:15]
	v_mul_f64_e32 v[74:75], v[60:61], v[14:15]
	v_add_f64_e64 v[80:81], v[64:65], -v[16:17]
	v_add_f64_e64 v[82:83], v[66:67], -v[18:19]
	v_add_f64_e32 v[64:65], v[64:65], v[16:17]
	v_add_f64_e32 v[66:67], v[66:67], v[18:19]
	ds_load_b128 v[16:19], v173
	s_wait_loadcnt_dscnt 0x1
	v_mul_f64_e32 v[76:77], v[10:11], v[6:7]
	v_mul_f64_e32 v[78:79], v[8:9], v[6:7]
	v_add_f64_e32 v[84:85], v[24:25], v[52:53]
	v_add_f64_e64 v[86:87], v[24:25], -v[52:53]
	v_add_f64_e64 v[88:89], v[26:27], -v[54:55]
	v_add_f64_e32 v[90:91], v[20:21], v[56:57]
	v_add_f64_e32 v[92:93], v[22:23], v[58:59]
	v_add_f64_e32 v[94:95], v[26:27], v[54:55]
	v_fma_f64 v[60:61], v[60:61], v[12:13], -v[72:73]
	v_fma_f64 v[62:63], v[62:63], v[12:13], v[74:75]
	v_add_f64_e64 v[20:21], v[20:21], -v[56:57]
	v_add_f64_e64 v[22:23], v[22:23], -v[58:59]
	global_wb scope:SCOPE_SE
	s_wait_dscnt 0x0
	s_barrier_signal -1
	s_barrier_wait -1
	global_inv scope:SCOPE_SE
	s_wait_alu 0xfffe
	v_mul_f64_e32 v[56:57], s[10:11], v[80:81]
	v_mul_f64_e32 v[58:59], s[10:11], v[82:83]
	v_fma_f64 v[72:73], v[64:65], s[14:15], v[16:17]
	v_fma_f64 v[74:75], v[66:67], s[14:15], v[18:19]
	s_mov_b32 s11, 0xbfe491b7
	v_fma_f64 v[8:9], v[8:9], v[4:5], -v[76:77]
	v_fma_f64 v[10:11], v[10:11], v[4:5], v[78:79]
	v_fma_f64 v[76:77], v[84:85], s[14:15], v[16:17]
	v_mul_f64_e32 v[78:79], s[0:1], v[86:87]
	v_mul_f64_e32 v[96:97], s[0:1], v[88:89]
	v_fma_f64 v[98:99], v[90:91], s[14:15], v[16:17]
	v_fma_f64 v[100:101], v[92:93], s[14:15], v[18:19]
	;; [unrolled: 1-line block ×3, first 2 shown]
	s_wait_alu 0xfffe
	v_mul_f64_e32 v[104:105], s[10:11], v[88:89]
	v_mul_f64_e32 v[106:107], s[10:11], v[86:87]
	v_add_f64_e32 v[113:114], v[90:91], v[64:65]
	v_add_f64_e32 v[115:116], v[92:93], v[66:67]
	s_mov_b32 s14, 0x7e0b738b
	s_mov_b32 s15, 0x3fc63a1a
	v_fma_f64 v[56:57], v[20:21], s[0:1], v[56:57]
	v_fma_f64 v[58:59], v[22:23], s[0:1], v[58:59]
	v_add_f64_e32 v[108:109], v[60:61], v[8:9]
	v_add_f64_e32 v[110:111], v[62:63], v[10:11]
	v_add_f64_e64 v[8:9], v[60:61], -v[8:9]
	v_add_f64_e64 v[10:11], v[62:63], -v[10:11]
	s_wait_alu 0xfffe
	v_fma_f64 v[60:61], v[90:91], s[14:15], v[72:73]
	v_fma_f64 v[62:63], v[92:93], s[14:15], v[74:75]
	;; [unrolled: 1-line block ×3, first 2 shown]
	v_fma_f64 v[74:75], v[20:21], s[10:11], -v[78:79]
	v_fma_f64 v[76:77], v[22:23], s[10:11], -v[96:97]
	v_fma_f64 v[78:79], v[84:85], s[14:15], v[98:99]
	v_fma_f64 v[96:97], v[94:95], s[14:15], v[100:101]
	;; [unrolled: 1-line block ×5, first 2 shown]
	v_add_f64_e32 v[121:122], v[84:85], v[113:114]
	v_add_f64_e32 v[123:124], v[94:95], v[115:116]
	s_mov_b32 s0, 0xe8584cab
	s_mov_b32 s1, 0x3febb67a
	;; [unrolled: 1-line block ×3, first 2 shown]
	s_wait_alu 0xfffe
	s_mov_b32 s10, s0
	v_add_f64_e32 v[104:105], v[86:87], v[80:81]
	v_add_f64_e32 v[106:107], v[88:89], v[82:83]
	s_mov_b32 s14, 0x748a0bf8
	s_mov_b32 s15, 0x3fd5e3a8
	v_add_f64_e32 v[113:114], v[108:109], v[113:114]
	v_add_f64_e32 v[115:116], v[110:111], v[115:116]
	v_fma_f64 v[56:57], v[8:9], s[0:1], v[56:57]
	v_fma_f64 v[58:59], v[10:11], s[0:1], v[58:59]
	v_fma_f64 v[60:61], v[108:109], -0.5, v[60:61]
	v_fma_f64 v[62:63], v[110:111], -0.5, v[62:63]
	v_add_f64_e32 v[117:118], v[16:17], v[108:109]
	v_fma_f64 v[74:75], v[8:9], s[0:1], v[74:75]
	v_fma_f64 v[76:77], v[10:11], s[0:1], v[76:77]
	v_fma_f64 v[78:79], v[108:109], -0.5, v[78:79]
	v_fma_f64 v[96:97], v[110:111], -0.5, v[96:97]
	v_add_f64_e32 v[119:120], v[18:19], v[110:111]
	v_fma_f64 v[72:73], v[108:109], -0.5, v[72:73]
	v_fma_f64 v[98:99], v[110:111], -0.5, v[98:99]
	s_wait_alu 0xfffe
	v_fma_f64 v[10:11], v[10:11], s[10:11], v[100:101]
	v_fma_f64 v[8:9], v[8:9], s[10:11], v[102:103]
	v_add_f64_e64 v[100:101], v[104:105], -v[20:21]
	v_add_f64_e64 v[102:103], v[106:107], -v[22:23]
	v_add_f64_e32 v[24:25], v[24:25], v[113:114]
	v_add_f64_e32 v[26:27], v[26:27], v[115:116]
	v_fma_f64 v[56:57], v[86:87], s[14:15], v[56:57]
	v_fma_f64 v[58:59], v[88:89], s[14:15], v[58:59]
	;; [unrolled: 1-line block ×4, first 2 shown]
	v_fma_f64 v[104:105], v[121:122], -0.5, v[117:118]
	v_fma_f64 v[74:75], v[80:81], s[14:15], v[74:75]
	v_fma_f64 v[76:77], v[82:83], s[14:15], v[76:77]
	;; [unrolled: 1-line block ×4, first 2 shown]
	v_fma_f64 v[106:107], v[123:124], -0.5, v[119:120]
	v_fma_f64 v[72:73], v[90:91], s[16:17], v[72:73]
	v_fma_f64 v[78:79], v[92:93], s[16:17], v[98:99]
	;; [unrolled: 1-line block ×4, first 2 shown]
	v_mul_f64_e32 v[82:83], s[0:1], v[100:101]
	v_mul_f64_e32 v[80:81], s[0:1], v[102:103]
	v_add_f64_e32 v[88:89], v[52:53], v[24:25]
	v_add_f64_e32 v[90:91], v[54:55], v[26:27]
	;; [unrolled: 1-line block ×3, first 2 shown]
	v_add_f64_e64 v[22:23], v[62:63], -v[56:57]
	v_fma_f64 v[8:9], v[102:103], s[0:1], v[104:105]
	v_cmp_gt_u16_e64 s0, 44, v174
	v_add_f64_e32 v[24:25], v[76:77], v[64:65]
	v_add_f64_e64 v[26:27], v[66:67], -v[74:75]
	v_fma_f64 v[10:11], v[100:101], s[10:11], v[106:107]
	v_add_f64_e32 v[52:53], v[84:85], v[72:73]
	v_add_f64_e64 v[54:55], v[78:79], -v[86:87]
	v_add_f64_e32 v[16:17], v[16:17], v[88:89]
	v_add_f64_e32 v[18:19], v[18:19], v[90:91]
	v_fma_f64 v[88:89], v[58:59], -2.0, v[20:21]
	v_fma_f64 v[90:91], v[56:57], 2.0, v[22:23]
	v_fma_f64 v[80:81], v[80:81], -2.0, v[8:9]
	v_and_b32_e32 v56, 0xffff, v125
	v_fma_f64 v[72:73], v[76:77], -2.0, v[24:25]
	v_fma_f64 v[74:75], v[74:75], 2.0, v[26:27]
	v_fma_f64 v[82:83], v[82:83], 2.0, v[10:11]
	s_delay_alu instid0(VALU_DEP_4) | instskip(SKIP_2) | instid1(VALU_DEP_3)
	v_mul_u32_u24_e32 v56, 0x63, v56
	v_fma_f64 v[84:85], v[84:85], -2.0, v[52:53]
	v_fma_f64 v[86:87], v[86:87], 2.0, v[54:55]
	v_add_lshl_u32 v176, v56, v126, 4
	ds_store_b128 v176, v[16:19]
	ds_store_b128 v176, v[20:23] offset:176
	ds_store_b128 v176, v[52:55] offset:352
	;; [unrolled: 1-line block ×8, first 2 shown]
	global_wb scope:SCOPE_SE
	s_wait_dscnt 0x0
	s_barrier_signal -1
	s_barrier_wait -1
	global_inv scope:SCOPE_SE
	ds_load_b128 v[76:79], v173
	ds_load_b128 v[104:107], v173 offset:1584
	ds_load_b128 v[92:95], v173 offset:3168
	;; [unrolled: 1-line block ×4, first 2 shown]
	s_and_saveexec_b32 s1, s0
	s_cbranch_execz .LBB0_9
; %bb.8:
	ds_load_b128 v[72:75], v173 offset:880
	ds_load_b128 v[80:83], v173 offset:2464
	;; [unrolled: 1-line block ×5, first 2 shown]
.LBB0_9:
	s_wait_alu 0xfffe
	s_or_b32 exec_lo, exec_lo, s1
	v_add_co_u32 v8, s1, v174, 55
	s_wait_alu 0xf1ff
	v_add_co_ci_u32_e64 v9, null, 0, 0, s1
	v_add_co_u32 v10, s1, 0xffffffd4, v174
	s_wait_alu 0xf1ff
	v_add_co_ci_u32_e64 v11, null, 0, -1, s1
	s_mov_b32 s11, 0xbfee6f0e
	s_delay_alu instid0(VALU_DEP_2) | instskip(SKIP_1) | instid1(VALU_DEP_3)
	v_cndmask_b32_e64 v8, v10, v8, s0
	v_lshlrev_b32_e32 v10, 6, v174
	v_cndmask_b32_e64 v9, v11, v9, s0
	s_clause 0x2
	global_load_b128 v[52:55], v10, s[2:3] offset:1440
	global_load_b128 v[56:59], v10, s[2:3] offset:1424
	;; [unrolled: 1-line block ×3, first 2 shown]
	v_lshlrev_b64_e32 v[8:9], 6, v[8:9]
	s_delay_alu instid0(VALU_DEP_1) | instskip(SKIP_1) | instid1(VALU_DEP_2)
	v_add_co_u32 v16, s1, s2, v8
	s_wait_alu 0xf1ff
	v_add_co_ci_u32_e64 v17, s1, s3, v9, s1
	s_clause 0x4
	global_load_b128 v[60:63], v10, s[2:3] offset:1456
	global_load_b128 v[8:11], v[16:17], off offset:1408
	global_load_b128 v[24:27], v[16:17], off offset:1424
	;; [unrolled: 1-line block ×4, first 2 shown]
	s_mov_b32 s2, 0x134454ff
	s_mov_b32 s3, 0x3fee6f0e
	s_wait_alu 0xfffe
	s_mov_b32 s10, s2
	s_wait_loadcnt_dscnt 0x701
	v_mul_f64_e32 v[113:114], v[98:99], v[54:55]
	s_wait_loadcnt 0x6
	v_mul_f64_e32 v[110:111], v[94:95], v[58:59]
	s_wait_loadcnt 0x5
	v_mul_f64_e32 v[108:109], v[106:107], v[66:67]
	v_mul_f64_e32 v[115:116], v[104:105], v[66:67]
	;; [unrolled: 1-line block ×4, first 2 shown]
	s_wait_loadcnt_dscnt 0x400
	v_mul_f64_e32 v[117:118], v[102:103], v[62:63]
	v_mul_f64_e32 v[123:124], v[100:101], v[62:63]
	s_wait_loadcnt 0x3
	v_mul_f64_e32 v[125:126], v[82:83], v[10:11]
	s_wait_loadcnt 0x2
	;; [unrolled: 2-line block ×3, first 2 shown]
	v_mul_f64_e32 v[129:130], v[90:91], v[22:23]
	v_mul_f64_e32 v[131:132], v[80:81], v[10:11]
	s_wait_loadcnt 0x0
	v_mul_f64_e32 v[133:134], v[70:71], v[18:19]
	v_mul_f64_e32 v[135:136], v[84:85], v[26:27]
	;; [unrolled: 1-line block ×4, first 2 shown]
	v_fma_f64 v[96:97], v[96:97], v[52:53], -v[113:114]
	v_fma_f64 v[92:93], v[92:93], v[56:57], -v[110:111]
	v_fma_f64 v[104:105], v[104:105], v[64:65], -v[108:109]
	v_fma_f64 v[106:107], v[106:107], v[64:65], v[115:116]
	v_fma_f64 v[94:95], v[94:95], v[56:57], v[119:120]
	;; [unrolled: 1-line block ×3, first 2 shown]
	v_fma_f64 v[100:101], v[100:101], v[60:61], -v[117:118]
	v_fma_f64 v[102:103], v[102:103], v[60:61], v[123:124]
	v_fma_f64 v[80:81], v[80:81], v[8:9], -v[125:126]
	v_fma_f64 v[84:85], v[84:85], v[24:25], -v[127:128]
	;; [unrolled: 1-line block ×3, first 2 shown]
	v_fma_f64 v[82:83], v[82:83], v[8:9], v[131:132]
	v_fma_f64 v[68:69], v[68:69], v[16:17], -v[133:134]
	v_fma_f64 v[86:87], v[86:87], v[24:25], v[135:136]
	v_fma_f64 v[90:91], v[90:91], v[20:21], v[137:138]
	;; [unrolled: 1-line block ×3, first 2 shown]
	v_add_f64_e32 v[108:109], v[92:93], v[96:97]
	v_add_f64_e32 v[125:126], v[76:77], v[104:105]
	;; [unrolled: 1-line block ×3, first 2 shown]
	v_add_f64_e64 v[147:148], v[106:107], -v[94:95]
	v_add_f64_e32 v[113:114], v[94:95], v[98:99]
	v_add_f64_e64 v[129:130], v[94:95], -v[98:99]
	v_add_f64_e32 v[110:111], v[104:105], v[100:101]
	v_add_f64_e32 v[115:116], v[106:107], v[102:103]
	v_add_f64_e64 v[127:128], v[106:107], -v[102:103]
	v_add_f64_e32 v[133:134], v[72:73], v[80:81]
	v_add_f64_e32 v[117:118], v[84:85], v[88:89]
	;; [unrolled: 1-line block ×4, first 2 shown]
	v_add_f64_e64 v[137:138], v[104:105], -v[100:101]
	v_add_f64_e32 v[121:122], v[86:87], v[90:91]
	v_add_f64_e32 v[123:124], v[82:83], v[70:71]
	v_add_f64_e64 v[139:140], v[82:83], -v[70:71]
	v_add_f64_e64 v[141:142], v[80:81], -v[68:69]
	;; [unrolled: 1-line block ×15, first 2 shown]
	v_fma_f64 v[108:109], v[108:109], -0.5, v[76:77]
	v_add_f64_e32 v[94:95], v[131:132], v[94:95]
	v_fma_f64 v[113:114], v[113:114], -0.5, v[78:79]
	v_fma_f64 v[76:77], v[110:111], -0.5, v[76:77]
	v_add_f64_e64 v[110:111], v[92:93], -v[96:97]
	v_fma_f64 v[78:79], v[115:116], -0.5, v[78:79]
	v_add_f64_e64 v[115:116], v[86:87], -v[90:91]
	v_fma_f64 v[117:118], v[117:118], -0.5, v[72:73]
	v_add_f64_e32 v[86:87], v[135:136], v[86:87]
	v_fma_f64 v[72:73], v[119:120], -0.5, v[72:73]
	v_add_f64_e64 v[119:120], v[84:85], -v[88:89]
	v_fma_f64 v[121:122], v[121:122], -0.5, v[74:75]
	v_fma_f64 v[74:75], v[123:124], -0.5, v[74:75]
	v_add_f64_e64 v[123:124], v[104:105], -v[92:93]
	v_add_f64_e64 v[104:105], v[92:93], -v[104:105]
	v_add_f64_e32 v[92:93], v[125:126], v[92:93]
	v_add_f64_e32 v[84:85], v[133:134], v[84:85]
	;; [unrolled: 1-line block ×4, first 2 shown]
	v_fma_f64 v[125:126], v[127:128], s[2:3], v[108:109]
	s_wait_alu 0xfffe
	v_fma_f64 v[108:109], v[127:128], s[10:11], v[108:109]
	v_add_f64_e32 v[94:95], v[94:95], v[98:99]
	v_fma_f64 v[133:134], v[137:138], s[10:11], v[113:114]
	v_fma_f64 v[113:114], v[137:138], s[2:3], v[113:114]
	;; [unrolled: 1-line block ×14, first 2 shown]
	s_mov_b32 s2, 0x4755a5e
	s_mov_b32 s3, 0x3fe2cf23
	;; [unrolled: 1-line block ×3, first 2 shown]
	s_wait_alu 0xfffe
	s_mov_b32 s10, s2
	v_add_f64_e32 v[123:124], v[123:124], v[143:144]
	v_add_f64_e32 v[143:144], v[104:105], v[145:146]
	;; [unrolled: 1-line block ×9, first 2 shown]
	v_fma_f64 v[88:89], v[129:130], s[2:3], v[125:126]
	s_wait_alu 0xfffe
	v_fma_f64 v[90:91], v[129:130], s[10:11], v[108:109]
	v_fma_f64 v[106:107], v[110:111], s[10:11], v[133:134]
	;; [unrolled: 1-line block ×15, first 2 shown]
	s_mov_b32 s2, 0x372fe950
	s_mov_b32 s3, 0x3fd3c6ef
	v_add_f64_e32 v[74:75], v[94:95], v[102:103]
	v_add_f64_e32 v[72:73], v[92:93], v[100:101]
	;; [unrolled: 1-line block ×4, first 2 shown]
	s_wait_alu 0xfffe
	v_fma_f64 v[100:101], v[123:124], s[2:3], v[88:89]
	v_fma_f64 v[96:97], v[123:124], s[2:3], v[90:91]
	;; [unrolled: 1-line block ×16, first 2 shown]
	ds_store_b128 v173, v[72:75]
	ds_store_b128 v173, v[100:103] offset:1584
	ds_store_b128 v173, v[104:107] offset:3168
	;; [unrolled: 1-line block ×4, first 2 shown]
	s_and_saveexec_b32 s1, s0
	s_cbranch_execz .LBB0_11
; %bb.10:
	ds_store_b128 v173, v[92:95] offset:880
	ds_store_b128 v173, v[88:91] offset:2464
	;; [unrolled: 1-line block ×5, first 2 shown]
.LBB0_11:
	s_wait_alu 0xfffe
	s_or_b32 exec_lo, exec_lo, s1
	global_wb scope:SCOPE_SE
	s_wait_dscnt 0x0
	s_barrier_signal -1
	s_barrier_wait -1
	global_inv scope:SCOPE_SE
	s_and_saveexec_b32 s1, vcc_lo
	s_cbranch_execz .LBB0_13
; %bb.12:
	s_add_nc_u64 s[2:3], s[12:13], 0x1ef0
	s_clause 0xa
	global_load_b128 v[68:71], v173, s[12:13] offset:7920
	global_load_b128 v[113:116], v173, s[2:3] offset:720
	;; [unrolled: 1-line block ×11, first 2 shown]
	ds_load_b128 v[153:156], v173
	ds_load_b128 v[157:160], v173 offset:720
	ds_load_b128 v[161:164], v173 offset:1440
	;; [unrolled: 1-line block ×10, first 2 shown]
	s_wait_loadcnt_dscnt 0xa0a
	v_mul_f64_e32 v[201:202], v[155:156], v[70:71]
	v_mul_f64_e32 v[70:71], v[153:154], v[70:71]
	s_wait_loadcnt_dscnt 0x909
	v_mul_f64_e32 v[203:204], v[159:160], v[115:116]
	v_mul_f64_e32 v[115:116], v[157:158], v[115:116]
	;; [unrolled: 3-line block ×11, first 2 shown]
	v_fma_f64 v[151:152], v[153:154], v[68:69], -v[201:202]
	v_fma_f64 v[153:154], v[155:156], v[68:69], v[70:71]
	v_fma_f64 v[68:69], v[157:158], v[113:114], -v[203:204]
	v_fma_f64 v[70:71], v[159:160], v[113:114], v[115:116]
	;; [unrolled: 2-line block ×11, first 2 shown]
	ds_store_b128 v173, v[151:154]
	ds_store_b128 v173, v[68:71] offset:720
	ds_store_b128 v173, v[113:116] offset:1440
	;; [unrolled: 1-line block ×10, first 2 shown]
.LBB0_13:
	s_wait_alu 0xfffe
	s_or_b32 exec_lo, exec_lo, s1
	global_wb scope:SCOPE_SE
	s_wait_dscnt 0x0
	s_barrier_signal -1
	s_barrier_wait -1
	global_inv scope:SCOPE_SE
	s_and_saveexec_b32 s1, vcc_lo
	s_cbranch_execz .LBB0_15
; %bb.14:
	ds_load_b128 v[72:75], v173
	ds_load_b128 v[100:103], v173 offset:720
	ds_load_b128 v[104:107], v173 offset:1440
	ds_load_b128 v[108:111], v173 offset:2160
	ds_load_b128 v[96:99], v173 offset:2880
	ds_load_b128 v[92:95], v173 offset:3600
	ds_load_b128 v[88:91], v173 offset:4320
	ds_load_b128 v[84:87], v173 offset:5040
	ds_load_b128 v[80:83], v173 offset:5760
	ds_load_b128 v[76:79], v173 offset:6480
	ds_load_b128 v[0:3], v173 offset:7200
.LBB0_15:
	s_wait_alu 0xfffe
	s_or_b32 exec_lo, exec_lo, s1
	s_wait_dscnt 0x0
	v_add_f64_e64 v[151:152], v[102:103], -v[2:3]
	v_add_f64_e32 v[157:158], v[102:103], v[2:3]
	s_mov_b32 s2, 0xd9c712b6
	s_mov_b32 s14, 0x8eee2c13
	s_mov_b32 s3, 0x3fda9628
	s_mov_b32 s15, 0xbfed1bb4
	v_add_f64_e32 v[149:150], v[100:101], v[0:1]
	v_add_f64_e64 v[159:160], v[100:101], -v[0:1]
	v_add_f64_e64 v[117:118], v[106:107], -v[78:79]
	v_add_f64_e32 v[113:114], v[106:107], v[78:79]
	s_mov_b32 s10, 0x7f775887
	s_mov_b32 s16, 0xbb3a28a1
	s_mov_b32 s11, 0xbfe4f49e
	s_mov_b32 s17, 0xbfe82f19
	v_add_f64_e32 v[115:116], v[104:105], v[76:77]
	v_add_f64_e64 v[123:124], v[104:105], -v[76:77]
	;; [unrolled: 8-line block ×3, first 2 shown]
	v_add_f64_e32 v[127:128], v[98:99], v[86:87]
	v_add_f64_e64 v[133:134], v[98:99], -v[86:87]
	s_mov_b32 s20, 0x640f44db
	s_mov_b32 s28, 0x43842ef
	;; [unrolled: 1-line block ×4, first 2 shown]
	v_add_f64_e32 v[131:132], v[96:97], v[84:85]
	v_add_f64_e64 v[137:138], v[96:97], -v[84:85]
	v_add_f64_e32 v[135:136], v[94:95], v[90:91]
	v_add_f64_e64 v[141:142], v[94:95], -v[90:91]
	s_mov_b32 s24, 0x8764f0ba
	s_mov_b32 s27, 0x3fe14ced
	;; [unrolled: 1-line block ×4, first 2 shown]
	s_wait_alu 0xfffe
	v_mul_f64_e32 v[169:170], s[14:15], v[151:152]
	v_mul_f64_e32 v[171:172], s[2:3], v[157:158]
	global_wb scope:SCOPE_SE
	s_barrier_signal -1
	s_barrier_wait -1
	global_inv scope:SCOPE_SE
	v_mul_f64_e32 v[145:146], s[16:17], v[117:118]
	v_mul_f64_e32 v[147:148], s[10:11], v[113:114]
	v_mul_f64_e32 v[153:154], s[22:23], v[125:126]
	v_mul_f64_e32 v[155:156], s[18:19], v[119:120]
	v_mul_f64_e32 v[163:164], s[20:21], v[127:128]
	v_mul_f64_e32 v[161:162], s[28:29], v[133:134]
	v_mul_f64_e32 v[167:168], s[24:25], v[135:136]
	v_mul_f64_e32 v[165:166], s[26:27], v[141:142]
	v_fma_f64 v[68:69], v[149:150], s[2:3], -v[169:170]
	v_fma_f64 v[70:71], v[159:160], s[14:15], v[171:172]
	v_fma_f64 v[139:140], v[115:116], s[10:11], -v[145:146]
	v_fma_f64 v[143:144], v[123:124], s[16:17], v[147:148]
	;; [unrolled: 2-line block ×3, first 2 shown]
	v_fma_f64 v[183:184], v[137:138], s[28:29], v[163:164]
	v_fma_f64 v[181:182], v[131:132], s[20:21], -v[161:162]
	v_add_f64_e32 v[68:69], v[72:73], v[68:69]
	v_add_f64_e32 v[70:71], v[74:75], v[70:71]
	s_delay_alu instid0(VALU_DEP_2) | instskip(NEXT) | instid1(VALU_DEP_2)
	v_add_f64_e32 v[68:69], v[139:140], v[68:69]
	v_add_f64_e32 v[70:71], v[143:144], v[70:71]
	;; [unrolled: 1-line block ×3, first 2 shown]
	v_add_f64_e64 v[143:144], v[92:93], -v[88:89]
	s_delay_alu instid0(VALU_DEP_4) | instskip(NEXT) | instid1(VALU_DEP_4)
	v_add_f64_e32 v[68:69], v[177:178], v[68:69]
	v_add_f64_e32 v[70:71], v[179:180], v[70:71]
	s_delay_alu instid0(VALU_DEP_4) | instskip(NEXT) | instid1(VALU_DEP_4)
	v_fma_f64 v[177:178], v[139:140], s[24:25], -v[165:166]
	v_fma_f64 v[179:180], v[143:144], s[26:27], v[167:168]
	s_delay_alu instid0(VALU_DEP_4) | instskip(NEXT) | instid1(VALU_DEP_4)
	v_add_f64_e32 v[68:69], v[181:182], v[68:69]
	v_add_f64_e32 v[70:71], v[183:184], v[70:71]
	s_delay_alu instid0(VALU_DEP_2) | instskip(NEXT) | instid1(VALU_DEP_2)
	v_add_f64_e32 v[68:69], v[177:178], v[68:69]
	v_add_f64_e32 v[70:71], v[179:180], v[70:71]
	s_and_saveexec_b32 s1, vcc_lo
	s_cbranch_execz .LBB0_17
; %bb.16:
	v_add_f64_e32 v[100:101], v[72:73], v[100:101]
	v_add_f64_e32 v[102:103], v[74:75], v[102:103]
	s_mov_b32 s35, 0xbfefac9e
	s_mov_b32 s34, s28
	;; [unrolled: 1-line block ×5, first 2 shown]
	s_wait_alu 0xfffe
	v_mul_f64_e32 v[181:182], s[36:37], v[143:144]
	v_mul_f64_e32 v[183:184], s[36:37], v[141:142]
	s_delay_alu instid0(VALU_DEP_4) | instskip(NEXT) | instid1(VALU_DEP_4)
	v_add_f64_e32 v[100:101], v[100:101], v[104:105]
	v_add_f64_e32 v[102:103], v[102:103], v[106:107]
	v_mul_f64_e32 v[104:105], s[30:31], v[151:152]
	v_mul_f64_e32 v[106:107], s[34:35], v[151:152]
	s_delay_alu instid0(VALU_DEP_4) | instskip(NEXT) | instid1(VALU_DEP_4)
	v_add_f64_e32 v[100:101], v[100:101], v[108:109]
	v_add_f64_e32 v[102:103], v[102:103], v[110:111]
	s_delay_alu instid0(VALU_DEP_2) | instskip(NEXT) | instid1(VALU_DEP_2)
	v_add_f64_e32 v[96:97], v[100:101], v[96:97]
	v_add_f64_e32 v[98:99], v[102:103], v[98:99]
	v_mul_f64_e32 v[102:103], s[16:17], v[151:152]
	s_delay_alu instid0(VALU_DEP_3) | instskip(NEXT) | instid1(VALU_DEP_3)
	v_add_f64_e32 v[92:93], v[96:97], v[92:93]
	v_add_f64_e32 v[94:95], v[98:99], v[94:95]
	s_delay_alu instid0(VALU_DEP_3) | instskip(SKIP_1) | instid1(VALU_DEP_4)
	v_fma_f64 v[110:111], v[149:150], s[10:11], -v[102:103]
	v_fma_f64 v[102:103], v[149:150], s[10:11], v[102:103]
	v_add_f64_e32 v[88:89], v[92:93], v[88:89]
	s_delay_alu instid0(VALU_DEP_4)
	v_add_f64_e32 v[90:91], v[94:95], v[90:91]
	v_mul_f64_e32 v[92:93], s[26:27], v[123:124]
	v_mul_f64_e32 v[94:95], s[26:27], v[117:118]
	v_add_f64_e32 v[110:111], v[72:73], v[110:111]
	v_add_f64_e32 v[102:103], v[72:73], v[102:103]
	;; [unrolled: 1-line block ×4, first 2 shown]
	s_delay_alu instid0(VALU_DEP_2) | instskip(NEXT) | instid1(VALU_DEP_2)
	v_add_f64_e32 v[80:81], v[84:85], v[80:81]
	v_add_f64_e32 v[82:83], v[86:87], v[82:83]
	v_mul_f64_e32 v[84:85], s[30:31], v[159:160]
	v_mul_f64_e32 v[86:87], s[34:35], v[159:160]
	s_delay_alu instid0(VALU_DEP_4) | instskip(NEXT) | instid1(VALU_DEP_4)
	v_add_f64_e32 v[76:77], v[80:81], v[76:77]
	v_add_f64_e32 v[78:79], v[82:83], v[78:79]
	v_mul_f64_e32 v[80:81], s[26:27], v[143:144]
	s_mov_b32 s27, 0xbfe14ced
	v_mul_f64_e32 v[82:83], s[16:17], v[159:160]
	s_wait_alu 0xfffe
	v_mul_f64_e32 v[88:89], s[26:27], v[159:160]
	v_mul_f64_e32 v[108:109], s[26:27], v[151:152]
	v_fma_f64 v[96:97], v[157:158], s[18:19], v[84:85]
	v_fma_f64 v[84:85], v[157:158], s[18:19], -v[84:85]
	v_fma_f64 v[98:99], v[157:158], s[20:21], -v[86:87]
	v_fma_f64 v[86:87], v[157:158], s[20:21], v[86:87]
	v_fma_f64 v[151:152], v[149:150], s[18:19], -v[104:105]
	v_fma_f64 v[104:105], v[149:150], s[18:19], v[104:105]
	v_add_f64_e32 v[0:1], v[76:77], v[0:1]
	v_mul_f64_e32 v[76:77], s[14:15], v[159:160]
	v_add_f64_e32 v[2:3], v[78:79], v[2:3]
	v_mul_f64_e32 v[78:79], s[2:3], v[149:150]
	v_fma_f64 v[90:91], v[157:158], s[10:11], v[82:83]
	v_fma_f64 v[82:83], v[157:158], s[10:11], -v[82:83]
	v_fma_f64 v[100:101], v[157:158], s[24:25], v[88:89]
	v_fma_f64 v[88:89], v[157:158], s[24:25], -v[88:89]
	;; [unrolled: 2-line block ×4, first 2 shown]
	v_add_f64_e32 v[151:152], v[72:73], v[151:152]
	v_add_f64_e32 v[104:105], v[72:73], v[104:105]
	v_add_f64_e32 v[177:178], v[74:75], v[86:87]
	v_add_f64_e32 v[96:97], v[74:75], v[96:97]
	v_add_f64_e32 v[98:99], v[74:75], v[98:99]
	v_add_f64_e64 v[80:81], v[167:168], -v[80:81]
	v_mul_f64_e32 v[167:168], s[16:17], v[141:142]
	v_add_f64_e64 v[76:77], v[171:172], -v[76:77]
	v_add_f64_e32 v[171:172], v[74:75], v[84:85]
	v_add_f64_e32 v[78:79], v[78:79], v[169:170]
	;; [unrolled: 1-line block ×3, first 2 shown]
	v_mul_f64_e32 v[84:85], s[26:27], v[129:130]
	v_add_f64_e32 v[82:83], v[74:75], v[82:83]
	v_add_f64_e32 v[179:180], v[74:75], v[100:101]
	;; [unrolled: 1-line block ×8, first 2 shown]
	v_mul_f64_e32 v[76:77], s[28:29], v[123:124]
	v_add_f64_e32 v[169:170], v[72:73], v[78:79]
	v_mul_f64_e32 v[78:79], s[28:29], v[117:118]
	v_fma_f64 v[86:87], v[119:120], s[24:25], v[84:85]
	s_delay_alu instid0(VALU_DEP_4) | instskip(SKIP_1) | instid1(VALU_DEP_4)
	v_fma_f64 v[72:73], v[113:114], s[20:21], v[76:77]
	v_fma_f64 v[76:77], v[113:114], s[20:21], -v[76:77]
	v_fma_f64 v[74:75], v[115:116], s[20:21], -v[78:79]
	v_fma_f64 v[78:79], v[115:116], s[20:21], v[78:79]
	s_delay_alu instid0(VALU_DEP_4) | instskip(NEXT) | instid1(VALU_DEP_4)
	v_add_f64_e32 v[72:73], v[72:73], v[90:91]
	v_add_f64_e32 v[76:77], v[76:77], v[82:83]
	s_delay_alu instid0(VALU_DEP_4)
	v_add_f64_e32 v[74:75], v[74:75], v[110:111]
	v_fma_f64 v[82:83], v[119:120], s[24:25], -v[84:85]
	v_add_f64_e32 v[78:79], v[78:79], v[102:103]
	v_fma_f64 v[84:85], v[139:140], s[2:3], v[183:184]
	v_mul_f64_e32 v[102:103], s[20:21], v[131:132]
	v_add_f64_e32 v[72:73], v[86:87], v[72:73]
	v_mul_f64_e32 v[86:87], s[26:27], v[125:126]
	v_add_f64_e32 v[76:77], v[82:83], v[76:77]
	s_delay_alu instid0(VALU_DEP_4) | instskip(NEXT) | instid1(VALU_DEP_3)
	v_add_f64_e32 v[102:103], v[102:103], v[161:162]
	v_fma_f64 v[88:89], v[121:122], s[24:25], -v[86:87]
	v_fma_f64 v[82:83], v[121:122], s[24:25], v[86:87]
	v_mul_f64_e32 v[86:87], s[22:23], v[129:130]
	s_delay_alu instid0(VALU_DEP_3) | instskip(SKIP_1) | instid1(VALU_DEP_4)
	v_add_f64_e32 v[74:75], v[88:89], v[74:75]
	v_mul_f64_e32 v[88:89], s[30:31], v[137:138]
	v_add_f64_e32 v[78:79], v[82:83], v[78:79]
	s_delay_alu instid0(VALU_DEP_4) | instskip(NEXT) | instid1(VALU_DEP_3)
	v_add_f64_e64 v[86:87], v[155:156], -v[86:87]
	v_fma_f64 v[90:91], v[127:128], s[18:19], v[88:89]
	v_fma_f64 v[82:83], v[127:128], s[18:19], -v[88:89]
	v_mul_f64_e32 v[88:89], s[18:19], v[121:122]
	s_delay_alu instid0(VALU_DEP_3) | instskip(SKIP_1) | instid1(VALU_DEP_4)
	v_add_f64_e32 v[72:73], v[90:91], v[72:73]
	v_mul_f64_e32 v[90:91], s[30:31], v[133:134]
	v_add_f64_e32 v[76:77], v[82:83], v[76:77]
	s_delay_alu instid0(VALU_DEP_4) | instskip(SKIP_1) | instid1(VALU_DEP_4)
	v_add_f64_e32 v[88:89], v[88:89], v[153:154]
	v_mul_f64_e32 v[153:154], s[36:37], v[129:130]
	v_fma_f64 v[82:83], v[131:132], s[18:19], v[90:91]
	v_fma_f64 v[110:111], v[131:132], s[18:19], -v[90:91]
	v_mul_f64_e32 v[90:91], s[28:29], v[137:138]
	s_delay_alu instid0(VALU_DEP_4) | instskip(NEXT) | instid1(VALU_DEP_4)
	v_fma_f64 v[155:156], v[119:120], s[2:3], -v[153:154]
	v_add_f64_e32 v[82:83], v[82:83], v[78:79]
	v_fma_f64 v[78:79], v[135:136], s[2:3], -v[181:182]
	s_delay_alu instid0(VALU_DEP_4) | instskip(SKIP_2) | instid1(VALU_DEP_4)
	v_add_f64_e64 v[90:91], v[163:164], -v[90:91]
	v_add_f64_e32 v[110:111], v[110:111], v[74:75]
	v_fma_f64 v[74:75], v[135:136], s[2:3], v[181:182]
	v_add_f64_e32 v[78:79], v[78:79], v[76:77]
	v_add_f64_e32 v[76:77], v[84:85], v[82:83]
	v_mul_f64_e32 v[82:83], s[16:17], v[123:124]
	v_mul_f64_e32 v[84:85], s[10:11], v[115:116]
	v_add_f64_e32 v[74:75], v[74:75], v[72:73]
	v_fma_f64 v[72:73], v[139:140], s[2:3], -v[183:184]
	s_delay_alu instid0(VALU_DEP_4) | instskip(NEXT) | instid1(VALU_DEP_4)
	v_add_f64_e64 v[82:83], v[147:148], -v[82:83]
	v_add_f64_e32 v[84:85], v[84:85], v[145:146]
	v_mul_f64_e32 v[145:146], s[36:37], v[133:134]
	s_delay_alu instid0(VALU_DEP_4)
	v_add_f64_e32 v[72:73], v[72:73], v[110:111]
	v_mul_f64_e32 v[110:111], s[36:37], v[137:138]
	v_mul_f64_e32 v[147:148], s[34:35], v[143:144]
	v_add_f64_e32 v[82:83], v[82:83], v[149:150]
	v_add_f64_e32 v[84:85], v[84:85], v[169:170]
	v_mul_f64_e32 v[149:150], s[34:35], v[141:142]
	s_delay_alu instid0(VALU_DEP_3) | instskip(NEXT) | instid1(VALU_DEP_3)
	v_add_f64_e32 v[82:83], v[86:87], v[82:83]
	v_add_f64_e32 v[84:85], v[88:89], v[84:85]
	v_mul_f64_e32 v[86:87], s[24:25], v[139:140]
	s_delay_alu instid0(VALU_DEP_3) | instskip(NEXT) | instid1(VALU_DEP_3)
	v_add_f64_e32 v[82:83], v[90:91], v[82:83]
	v_add_f64_e32 v[84:85], v[102:103], v[84:85]
	s_delay_alu instid0(VALU_DEP_3) | instskip(SKIP_3) | instid1(VALU_DEP_4)
	v_add_f64_e32 v[86:87], v[86:87], v[165:166]
	v_mul_f64_e32 v[102:103], s[16:17], v[125:126]
	v_mul_f64_e32 v[165:166], s[16:17], v[143:144]
	v_add_f64_e32 v[82:83], v[80:81], v[82:83]
	v_add_f64_e32 v[80:81], v[86:87], v[84:85]
	v_fma_f64 v[84:85], v[113:114], s[24:25], v[92:93]
	v_fma_f64 v[86:87], v[115:116], s[24:25], -v[94:95]
	v_fma_f64 v[92:93], v[113:114], s[24:25], -v[92:93]
	v_fma_f64 v[94:95], v[115:116], s[24:25], v[94:95]
	s_delay_alu instid0(VALU_DEP_4)
	v_add_f64_e32 v[84:85], v[84:85], v[96:97]
	v_mul_f64_e32 v[96:97], s[16:17], v[129:130]
	v_add_f64_e32 v[86:87], v[86:87], v[151:152]
	v_add_f64_e32 v[92:93], v[92:93], v[171:172]
	v_mul_f64_e32 v[151:152], s[22:23], v[123:124]
	v_add_f64_e32 v[94:95], v[94:95], v[104:105]
	v_fma_f64 v[104:105], v[139:140], s[10:11], -v[167:168]
	v_fma_f64 v[88:89], v[119:120], s[10:11], v[96:97]
	v_fma_f64 v[96:97], v[119:120], s[10:11], -v[96:97]
	s_delay_alu instid0(VALU_DEP_2) | instskip(SKIP_1) | instid1(VALU_DEP_3)
	v_add_f64_e32 v[84:85], v[88:89], v[84:85]
	v_fma_f64 v[88:89], v[121:122], s[10:11], -v[102:103]
	v_add_f64_e32 v[92:93], v[96:97], v[92:93]
	v_fma_f64 v[96:97], v[121:122], s[10:11], v[102:103]
	v_fma_f64 v[102:103], v[139:140], s[20:21], v[149:150]
	s_delay_alu instid0(VALU_DEP_4) | instskip(SKIP_1) | instid1(VALU_DEP_4)
	v_add_f64_e32 v[86:87], v[88:89], v[86:87]
	v_fma_f64 v[88:89], v[127:128], s[2:3], v[110:111]
	v_add_f64_e32 v[94:95], v[96:97], v[94:95]
	v_fma_f64 v[96:97], v[127:128], s[2:3], -v[110:111]
	v_mul_f64_e32 v[110:111], s[34:35], v[129:130]
	s_delay_alu instid0(VALU_DEP_4) | instskip(SKIP_1) | instid1(VALU_DEP_4)
	v_add_f64_e32 v[84:85], v[88:89], v[84:85]
	v_fma_f64 v[88:89], v[131:132], s[2:3], -v[145:146]
	v_add_f64_e32 v[92:93], v[96:97], v[92:93]
	v_fma_f64 v[96:97], v[131:132], s[2:3], v[145:146]
	s_delay_alu instid0(VALU_DEP_3) | instskip(SKIP_1) | instid1(VALU_DEP_3)
	v_add_f64_e32 v[88:89], v[88:89], v[86:87]
	v_fma_f64 v[86:87], v[135:136], s[20:21], v[147:148]
	v_add_f64_e32 v[96:97], v[96:97], v[94:95]
	v_fma_f64 v[94:95], v[135:136], s[20:21], -v[147:148]
	s_delay_alu instid0(VALU_DEP_3) | instskip(SKIP_1) | instid1(VALU_DEP_3)
	v_add_f64_e32 v[86:87], v[86:87], v[84:85]
	v_fma_f64 v[84:85], v[139:140], s[20:21], -v[149:150]
	v_add_f64_e32 v[94:95], v[94:95], v[92:93]
	v_add_f64_e32 v[92:93], v[102:103], v[96:97]
	v_fma_f64 v[96:97], v[113:114], s[18:19], v[151:152]
	v_fma_f64 v[102:103], v[119:120], s[2:3], v[153:154]
	v_add_f64_e32 v[84:85], v[84:85], v[88:89]
	v_fma_f64 v[88:89], v[113:114], s[18:19], -v[151:152]
	s_delay_alu instid0(VALU_DEP_4) | instskip(NEXT) | instid1(VALU_DEP_2)
	v_add_f64_e32 v[96:97], v[96:97], v[177:178]
	v_add_f64_e32 v[88:89], v[88:89], v[98:99]
	v_mul_f64_e32 v[98:99], s[22:23], v[117:118]
	s_delay_alu instid0(VALU_DEP_3) | instskip(NEXT) | instid1(VALU_DEP_3)
	v_add_f64_e32 v[96:97], v[102:103], v[96:97]
	v_add_f64_e32 v[88:89], v[155:156], v[88:89]
	s_delay_alu instid0(VALU_DEP_3) | instskip(SKIP_2) | instid1(VALU_DEP_3)
	v_fma_f64 v[90:91], v[115:116], s[18:19], v[98:99]
	v_mul_f64_e32 v[155:156], s[36:37], v[125:126]
	v_fma_f64 v[98:99], v[115:116], s[18:19], -v[98:99]
	v_add_f64_e32 v[90:91], v[90:91], v[157:158]
	s_delay_alu instid0(VALU_DEP_3) | instskip(NEXT) | instid1(VALU_DEP_3)
	v_fma_f64 v[157:158], v[121:122], s[2:3], v[155:156]
	v_add_f64_e32 v[98:99], v[98:99], v[106:107]
	v_fma_f64 v[102:103], v[121:122], s[2:3], -v[155:156]
	v_mul_f64_e32 v[106:107], s[14:15], v[117:118]
	v_fma_f64 v[117:118], v[119:120], s[20:21], -v[110:111]
	v_fma_f64 v[110:111], v[119:120], s[20:21], v[110:111]
	v_add_f64_e32 v[90:91], v[157:158], v[90:91]
	v_mul_f64_e32 v[157:158], s[26:27], v[137:138]
	v_add_f64_e32 v[98:99], v[102:103], v[98:99]
	s_delay_alu instid0(VALU_DEP_2) | instskip(SKIP_1) | instid1(VALU_DEP_2)
	v_fma_f64 v[161:162], v[127:128], s[24:25], -v[157:158]
	v_fma_f64 v[102:103], v[127:128], s[24:25], v[157:158]
	v_add_f64_e32 v[88:89], v[161:162], v[88:89]
	v_mul_f64_e32 v[161:162], s[26:27], v[133:134]
	s_delay_alu instid0(VALU_DEP_3) | instskip(NEXT) | instid1(VALU_DEP_2)
	v_add_f64_e32 v[96:97], v[102:103], v[96:97]
	v_fma_f64 v[102:103], v[131:132], s[24:25], -v[161:162]
	v_fma_f64 v[163:164], v[131:132], s[24:25], v[161:162]
	s_delay_alu instid0(VALU_DEP_2) | instskip(SKIP_1) | instid1(VALU_DEP_3)
	v_add_f64_e32 v[102:103], v[102:103], v[98:99]
	v_fma_f64 v[98:99], v[135:136], s[10:11], v[165:166]
	v_add_f64_e32 v[163:164], v[163:164], v[90:91]
	v_fma_f64 v[90:91], v[135:136], s[10:11], -v[165:166]
	s_delay_alu instid0(VALU_DEP_3) | instskip(SKIP_2) | instid1(VALU_DEP_4)
	v_add_f64_e32 v[98:99], v[98:99], v[96:97]
	v_add_f64_e32 v[96:97], v[104:105], v[102:103]
	v_mul_f64_e32 v[104:105], s[14:15], v[123:124]
	v_add_f64_e32 v[90:91], v[90:91], v[88:89]
	v_fma_f64 v[88:89], v[139:140], s[10:11], v[167:168]
	s_delay_alu instid0(VALU_DEP_3) | instskip(SKIP_1) | instid1(VALU_DEP_3)
	v_fma_f64 v[102:103], v[113:114], s[2:3], -v[104:105]
	v_fma_f64 v[104:105], v[113:114], s[2:3], v[104:105]
	v_add_f64_e32 v[88:89], v[88:89], v[163:164]
	s_delay_alu instid0(VALU_DEP_3) | instskip(SKIP_3) | instid1(VALU_DEP_4)
	v_add_f64_e32 v[100:101], v[102:103], v[100:101]
	v_fma_f64 v[102:103], v[115:116], s[2:3], v[106:107]
	v_fma_f64 v[106:107], v[115:116], s[2:3], -v[106:107]
	v_add_f64_e32 v[104:105], v[104:105], v[179:180]
	v_add_f64_e32 v[100:101], v[117:118], v[100:101]
	v_mul_f64_e32 v[117:118], s[34:35], v[125:126]
	v_add_f64_e32 v[102:103], v[102:103], v[159:160]
	v_add_f64_e32 v[106:107], v[106:107], v[108:109]
	;; [unrolled: 1-line block ×3, first 2 shown]
	s_delay_alu instid0(VALU_DEP_4) | instskip(SKIP_1) | instid1(VALU_DEP_2)
	v_fma_f64 v[123:124], v[121:122], s[20:21], v[117:118]
	v_fma_f64 v[113:114], v[121:122], s[20:21], -v[117:118]
	v_add_f64_e32 v[102:103], v[123:124], v[102:103]
	v_mul_f64_e32 v[123:124], s[16:17], v[137:138]
	v_mul_f64_e32 v[137:138], s[30:31], v[141:142]
	s_delay_alu instid0(VALU_DEP_4) | instskip(NEXT) | instid1(VALU_DEP_3)
	v_add_f64_e32 v[106:107], v[113:114], v[106:107]
	v_fma_f64 v[125:126], v[127:128], s[10:11], -v[123:124]
	v_fma_f64 v[108:109], v[127:128], s[10:11], v[123:124]
	s_delay_alu instid0(VALU_DEP_4) | instskip(NEXT) | instid1(VALU_DEP_3)
	v_fma_f64 v[113:114], v[139:140], s[18:19], -v[137:138]
	v_add_f64_e32 v[100:101], v[125:126], v[100:101]
	v_mul_f64_e32 v[125:126], s[16:17], v[133:134]
	v_mul_f64_e32 v[133:134], s[30:31], v[143:144]
	v_add_f64_e32 v[104:105], v[108:109], v[104:105]
	s_delay_alu instid0(VALU_DEP_3) | instskip(SKIP_1) | instid1(VALU_DEP_4)
	v_fma_f64 v[129:130], v[131:132], s[10:11], v[125:126]
	v_fma_f64 v[115:116], v[131:132], s[10:11], -v[125:126]
	v_fma_f64 v[110:111], v[135:136], s[18:19], v[133:134]
	s_delay_alu instid0(VALU_DEP_3) | instskip(SKIP_1) | instid1(VALU_DEP_4)
	v_add_f64_e32 v[129:130], v[129:130], v[102:103]
	v_fma_f64 v[102:103], v[135:136], s[18:19], -v[133:134]
	v_add_f64_e32 v[108:109], v[115:116], v[106:107]
	s_delay_alu instid0(VALU_DEP_4) | instskip(NEXT) | instid1(VALU_DEP_3)
	v_add_f64_e32 v[106:107], v[110:111], v[104:105]
	v_add_f64_e32 v[102:103], v[102:103], v[100:101]
	v_fma_f64 v[100:101], v[139:140], s[18:19], v[137:138]
	s_delay_alu instid0(VALU_DEP_4) | instskip(SKIP_1) | instid1(VALU_DEP_1)
	v_add_f64_e32 v[104:105], v[113:114], v[108:109]
	v_and_b32_e32 v108, 0xffff, v175
	v_lshlrev_b32_e32 v108, 4, v108
	s_delay_alu instid0(VALU_DEP_4)
	v_add_f64_e32 v[100:101], v[100:101], v[129:130]
	ds_store_b128 v108, v[80:83] offset:32
	ds_store_b128 v108, v[88:91] offset:48
	;; [unrolled: 1-line block ×9, first 2 shown]
	ds_store_b128 v108, v[0:3]
	ds_store_b128 v108, v[104:107] offset:160
.LBB0_17:
	s_wait_alu 0xfffe
	s_or_b32 exec_lo, exec_lo, s1
	global_wb scope:SCOPE_SE
	s_wait_dscnt 0x0
	s_barrier_signal -1
	s_barrier_wait -1
	global_inv scope:SCOPE_SE
	ds_load_b128 v[0:3], v173 offset:880
	ds_load_b128 v[72:75], v173 offset:7040
	;; [unrolled: 1-line block ×7, first 2 shown]
	s_mov_b32 s2, 0x8c811c17
	s_mov_b32 s14, 0xa2cf5039
	;; [unrolled: 1-line block ×8, first 2 shown]
	s_wait_dscnt 0x6
	v_mul_f64_e32 v[96:97], v[30:31], v[2:3]
	v_mul_f64_e32 v[30:31], v[30:31], v[0:1]
	s_wait_dscnt 0x5
	v_mul_f64_e32 v[98:99], v[42:43], v[74:75]
	v_mul_f64_e32 v[42:43], v[42:43], v[72:73]
	;; [unrolled: 3-line block ×3, first 2 shown]
	s_wait_dscnt 0x3
	v_mul_f64_e32 v[102:103], v[34:35], v[82:83]
	s_wait_dscnt 0x2
	v_mul_f64_e32 v[104:105], v[50:51], v[86:87]
	v_mul_f64_e32 v[34:35], v[34:35], v[80:81]
	;; [unrolled: 1-line block ×3, first 2 shown]
	s_wait_dscnt 0x1
	v_mul_f64_e32 v[106:107], v[46:47], v[90:91]
	v_mul_f64_e32 v[46:47], v[46:47], v[88:89]
	v_fma_f64 v[96:97], v[28:29], v[0:1], v[96:97]
	v_fma_f64 v[28:29], v[28:29], v[2:3], -v[30:31]
	v_fma_f64 v[30:31], v[40:41], v[72:73], v[98:99]
	v_fma_f64 v[40:41], v[40:41], v[74:75], -v[42:43]
	;; [unrolled: 2-line block ×3, first 2 shown]
	v_fma_f64 v[38:39], v[32:33], v[80:81], v[102:103]
	v_fma_f64 v[72:73], v[48:49], v[84:85], v[104:105]
	v_fma_f64 v[32:33], v[32:33], v[82:83], -v[34:35]
	v_fma_f64 v[34:35], v[48:49], v[86:87], -v[50:51]
	v_fma_f64 v[48:49], v[44:45], v[88:89], v[106:107]
	v_fma_f64 v[44:45], v[44:45], v[90:91], -v[46:47]
	ds_load_b128 v[0:3], v173 offset:5280
	s_wait_dscnt 0x1
	v_mul_f64_e32 v[46:47], v[14:15], v[94:95]
	v_mul_f64_e32 v[14:15], v[14:15], v[92:93]
	v_add_f64_e64 v[74:75], v[96:97], -v[30:31]
	v_add_f64_e64 v[76:77], v[28:29], -v[40:41]
	v_add_f64_e32 v[78:79], v[96:97], v[30:31]
	v_add_f64_e32 v[40:41], v[28:29], v[40:41]
	ds_load_b128 v[28:31], v173
	s_wait_dscnt 0x1
	v_mul_f64_e32 v[50:51], v[6:7], v[2:3]
	v_mul_f64_e32 v[6:7], v[6:7], v[0:1]
	v_add_f64_e32 v[80:81], v[38:39], v[72:73]
	v_add_f64_e64 v[82:83], v[38:39], -v[72:73]
	v_add_f64_e64 v[84:85], v[32:33], -v[34:35]
	v_add_f64_e32 v[86:87], v[42:43], v[48:49]
	v_add_f64_e32 v[88:89], v[36:37], v[44:45]
	;; [unrolled: 1-line block ×3, first 2 shown]
	v_fma_f64 v[46:47], v[12:13], v[92:93], v[46:47]
	v_fma_f64 v[12:13], v[12:13], v[94:95], -v[14:15]
	global_wb scope:SCOPE_SE
	s_wait_dscnt 0x0
	s_barrier_signal -1
	s_barrier_wait -1
	global_inv scope:SCOPE_SE
	s_wait_alu 0xfffe
	v_mul_f64_e32 v[14:15], s[10:11], v[74:75]
	v_fma_f64 v[0:1], v[4:5], v[0:1], v[50:51]
	v_fma_f64 v[2:3], v[4:5], v[2:3], -v[6:7]
	v_add_f64_e64 v[4:5], v[42:43], -v[48:49]
	v_add_f64_e64 v[6:7], v[36:37], -v[44:45]
	v_mul_f64_e32 v[36:37], s[10:11], v[76:77]
	v_fma_f64 v[42:43], v[78:79], s[14:15], v[28:29]
	v_fma_f64 v[44:45], v[40:41], s[14:15], v[30:31]
	;; [unrolled: 1-line block ×3, first 2 shown]
	v_mul_f64_e32 v[50:51], s[2:3], v[82:83]
	v_mul_f64_e32 v[92:93], s[2:3], v[84:85]
	v_fma_f64 v[94:95], v[86:87], s[14:15], v[28:29]
	v_fma_f64 v[96:97], v[88:89], s[14:15], v[30:31]
	s_mov_b32 s11, 0xbfe491b7
	v_fma_f64 v[98:99], v[90:91], s[14:15], v[30:31]
	s_wait_alu 0xfffe
	v_mul_f64_e32 v[100:101], s[10:11], v[84:85]
	v_mul_f64_e32 v[102:103], s[10:11], v[82:83]
	v_add_f64_e32 v[108:109], v[86:87], v[78:79]
	v_add_f64_e32 v[110:111], v[88:89], v[40:41]
	s_mov_b32 s14, 0x7e0b738b
	s_mov_b32 s15, 0x3fc63a1a
	v_add_f64_e32 v[104:105], v[46:47], v[0:1]
	v_add_f64_e32 v[106:107], v[12:13], v[2:3]
	v_add_f64_e64 v[0:1], v[46:47], -v[0:1]
	v_add_f64_e64 v[2:3], v[12:13], -v[2:3]
	v_fma_f64 v[12:13], v[4:5], s[2:3], v[14:15]
	v_fma_f64 v[14:15], v[6:7], s[2:3], v[36:37]
	s_wait_alu 0xfffe
	v_fma_f64 v[36:37], v[86:87], s[14:15], v[42:43]
	v_fma_f64 v[42:43], v[88:89], s[14:15], v[44:45]
	;; [unrolled: 1-line block ×3, first 2 shown]
	v_fma_f64 v[46:47], v[4:5], s[10:11], -v[50:51]
	v_fma_f64 v[48:49], v[6:7], s[10:11], -v[92:93]
	v_fma_f64 v[50:51], v[80:81], s[14:15], v[94:95]
	v_fma_f64 v[92:93], v[90:91], s[14:15], v[96:97]
	;; [unrolled: 1-line block ×5, first 2 shown]
	v_add_f64_e32 v[117:118], v[80:81], v[108:109]
	v_add_f64_e32 v[119:120], v[90:91], v[110:111]
	s_mov_b32 s2, 0xe8584cab
	s_mov_b32 s3, 0x3febb67a
	v_add_f64_e32 v[100:101], v[82:83], v[74:75]
	v_add_f64_e32 v[102:103], v[84:85], v[76:77]
	s_mov_b32 s11, 0xbfebb67a
	s_wait_alu 0xfffe
	s_mov_b32 s10, s2
	s_mov_b32 s14, 0x748a0bf8
	;; [unrolled: 1-line block ×3, first 2 shown]
	v_add_f64_e32 v[108:109], v[104:105], v[108:109]
	v_add_f64_e32 v[110:111], v[106:107], v[110:111]
	;; [unrolled: 1-line block ×4, first 2 shown]
	v_fma_f64 v[12:13], v[0:1], s[2:3], v[12:13]
	v_fma_f64 v[14:15], v[2:3], s[2:3], v[14:15]
	v_fma_f64 v[36:37], v[104:105], -0.5, v[36:37]
	v_fma_f64 v[42:43], v[106:107], -0.5, v[42:43]
	;; [unrolled: 1-line block ×3, first 2 shown]
	v_fma_f64 v[46:47], v[0:1], s[2:3], v[46:47]
	v_fma_f64 v[48:49], v[2:3], s[2:3], v[48:49]
	v_fma_f64 v[50:51], v[104:105], -0.5, v[50:51]
	v_fma_f64 v[92:93], v[106:107], -0.5, v[92:93]
	;; [unrolled: 1-line block ×3, first 2 shown]
	s_wait_alu 0xfffe
	v_fma_f64 v[2:3], v[2:3], s[10:11], v[96:97]
	v_fma_f64 v[0:1], v[0:1], s[10:11], v[98:99]
	v_add_f64_e64 v[96:97], v[100:101], -v[4:5]
	v_add_f64_e64 v[98:99], v[102:103], -v[6:7]
	v_add_f64_e32 v[38:39], v[38:39], v[108:109]
	v_add_f64_e32 v[32:33], v[32:33], v[110:111]
	v_fma_f64 v[100:101], v[117:118], -0.5, v[113:114]
	v_fma_f64 v[102:103], v[119:120], -0.5, v[115:116]
	v_fma_f64 v[12:13], v[82:83], s[14:15], v[12:13]
	v_fma_f64 v[14:15], v[84:85], s[14:15], v[14:15]
	;; [unrolled: 1-line block ×12, first 2 shown]
	v_mul_f64_e32 v[0:1], s[2:3], v[96:97]
	v_mul_f64_e32 v[2:3], s[2:3], v[98:99]
	v_add_f64_e32 v[4:5], v[72:73], v[38:39]
	v_add_f64_e32 v[6:7], v[34:35], v[32:33]
	v_fma_f64 v[32:33], v[98:99], s[10:11], v[100:101]
	v_fma_f64 v[34:35], v[96:97], s[2:3], v[102:103]
	v_add_f64_e64 v[36:37], v[36:37], -v[14:15]
	v_add_f64_e32 v[38:39], v[12:13], v[80:81]
	v_add_f64_e64 v[40:41], v[42:43], -v[76:77]
	v_add_f64_e32 v[42:43], v[74:75], v[46:47]
	;; [unrolled: 2-line block ×3, first 2 shown]
	v_add_f64_e32 v[48:49], v[28:29], v[4:5]
	v_add_f64_e32 v[50:51], v[30:31], v[6:7]
	v_fma_f64 v[4:5], v[2:3], 2.0, v[32:33]
	v_fma_f64 v[6:7], v[0:1], -2.0, v[34:35]
	v_fma_f64 v[28:29], v[14:15], 2.0, v[36:37]
	v_fma_f64 v[30:31], v[12:13], -2.0, v[38:39]
	;; [unrolled: 2-line block ×4, first 2 shown]
	ds_store_b128 v176, v[48:51]
	ds_store_b128 v176, v[36:39] offset:176
	ds_store_b128 v176, v[44:47] offset:352
	;; [unrolled: 1-line block ×8, first 2 shown]
	global_wb scope:SCOPE_SE
	s_wait_dscnt 0x0
	s_barrier_signal -1
	s_barrier_wait -1
	global_inv scope:SCOPE_SE
	ds_load_b128 v[32:35], v173
	ds_load_b128 v[48:51], v173 offset:1584
	ds_load_b128 v[36:39], v173 offset:3168
	;; [unrolled: 1-line block ×4, first 2 shown]
	s_and_saveexec_b32 s1, s0
	s_cbranch_execz .LBB0_19
; %bb.18:
	ds_load_b128 v[0:3], v173 offset:880
	ds_load_b128 v[4:7], v173 offset:2464
	;; [unrolled: 1-line block ×5, first 2 shown]
.LBB0_19:
	s_wait_alu 0xfffe
	s_or_b32 exec_lo, exec_lo, s1
	s_wait_dscnt 0x3
	v_mul_f64_e32 v[72:73], v[66:67], v[50:51]
	s_wait_dscnt 0x2
	v_mul_f64_e32 v[74:75], v[58:59], v[38:39]
	;; [unrolled: 2-line block ×4, first 2 shown]
	v_mul_f64_e32 v[58:59], v[58:59], v[36:37]
	v_mul_f64_e32 v[54:55], v[54:55], v[40:41]
	;; [unrolled: 1-line block ×4, first 2 shown]
	s_mov_b32 s2, 0x134454ff
	s_mov_b32 s3, 0xbfee6f0e
	;; [unrolled: 1-line block ×3, first 2 shown]
	s_wait_alu 0xfffe
	s_mov_b32 s10, s2
	s_mov_b32 s16, 0x4755a5e
	s_mov_b32 s17, 0xbfe2cf23
	s_mov_b32 s15, 0x3fe2cf23
	s_wait_alu 0xfffe
	s_mov_b32 s14, s16
	s_mov_b32 s18, 0x372fe950
	;; [unrolled: 1-line block ×3, first 2 shown]
	v_fma_f64 v[48:49], v[64:65], v[48:49], v[72:73]
	v_fma_f64 v[36:37], v[56:57], v[36:37], v[74:75]
	;; [unrolled: 1-line block ×4, first 2 shown]
	v_fma_f64 v[38:39], v[56:57], v[38:39], -v[58:59]
	v_fma_f64 v[42:43], v[52:53], v[42:43], -v[54:55]
	;; [unrolled: 1-line block ×4, first 2 shown]
	v_add_f64_e32 v[60:61], v[32:33], v[48:49]
	v_add_f64_e32 v[52:53], v[36:37], v[40:41]
	;; [unrolled: 1-line block ×3, first 2 shown]
	v_add_f64_e64 v[72:73], v[48:49], -v[44:45]
	v_add_f64_e32 v[56:57], v[38:39], v[42:43]
	v_add_f64_e32 v[66:67], v[34:35], v[50:51]
	;; [unrolled: 1-line block ×3, first 2 shown]
	v_add_f64_e64 v[62:63], v[50:51], -v[46:47]
	v_add_f64_e64 v[64:65], v[38:39], -v[42:43]
	;; [unrolled: 1-line block ×8, first 2 shown]
	v_fma_f64 v[52:53], v[52:53], -0.5, v[32:33]
	v_fma_f64 v[32:33], v[54:55], -0.5, v[32:33]
	v_add_f64_e64 v[54:55], v[36:37], -v[40:41]
	v_fma_f64 v[56:57], v[56:57], -0.5, v[34:35]
	v_add_f64_e32 v[38:39], v[66:67], v[38:39]
	v_fma_f64 v[34:35], v[58:59], -0.5, v[34:35]
	v_add_f64_e64 v[58:59], v[48:49], -v[36:37]
	v_add_f64_e64 v[48:49], v[36:37], -v[48:49]
	v_add_f64_e32 v[36:37], v[60:61], v[36:37]
	v_add_f64_e32 v[50:51], v[50:51], v[82:83]
	v_fma_f64 v[60:61], v[62:63], s[2:3], v[52:53]
	v_fma_f64 v[52:53], v[62:63], s[10:11], v[52:53]
	;; [unrolled: 1-line block ×8, first 2 shown]
	v_add_f64_e32 v[36:37], v[36:37], v[40:41]
	v_add_f64_e32 v[38:39], v[38:39], v[42:43]
	;; [unrolled: 1-line block ×5, first 2 shown]
	v_fma_f64 v[40:41], v[64:65], s[16:17], v[60:61]
	s_wait_alu 0xfffe
	v_fma_f64 v[42:43], v[64:65], s[14:15], v[52:53]
	v_fma_f64 v[52:53], v[62:63], s[16:17], v[66:67]
	;; [unrolled: 1-line block ×7, first 2 shown]
	v_add_f64_e32 v[32:33], v[36:37], v[44:45]
	v_add_f64_e32 v[34:35], v[38:39], v[46:47]
	v_fma_f64 v[36:37], v[58:59], s[18:19], v[40:41]
	v_fma_f64 v[40:41], v[58:59], s[18:19], v[42:43]
	;; [unrolled: 1-line block ×8, first 2 shown]
	ds_store_b128 v173, v[32:35]
	ds_store_b128 v173, v[36:39] offset:1584
	ds_store_b128 v173, v[44:47] offset:3168
	;; [unrolled: 1-line block ×4, first 2 shown]
	s_and_saveexec_b32 s1, s0
	s_cbranch_execz .LBB0_21
; %bb.20:
	v_mul_f64_e32 v[32:33], v[26:27], v[12:13]
	v_mul_f64_e32 v[34:35], v[10:11], v[4:5]
	;; [unrolled: 1-line block ×8, first 2 shown]
	v_fma_f64 v[14:15], v[24:25], v[14:15], -v[32:33]
	v_fma_f64 v[6:7], v[8:9], v[6:7], -v[34:35]
	;; [unrolled: 1-line block ×4, first 2 shown]
	v_fma_f64 v[12:13], v[24:25], v[12:13], v[26:27]
	v_fma_f64 v[20:21], v[20:21], v[28:29], v[22:23]
	;; [unrolled: 1-line block ×4, first 2 shown]
	v_add_f64_e32 v[28:29], v[2:3], v[6:7]
	v_add_f64_e32 v[10:11], v[6:7], v[32:33]
	v_add_f64_e32 v[16:17], v[14:15], v[30:31]
	v_add_f64_e64 v[36:37], v[6:7], -v[32:33]
	v_add_f64_e32 v[18:19], v[12:13], v[20:21]
	v_add_f64_e32 v[34:35], v[0:1], v[4:5]
	;; [unrolled: 1-line block ×3, first 2 shown]
	v_add_f64_e64 v[26:27], v[4:5], -v[8:9]
	v_add_f64_e64 v[24:25], v[12:13], -v[20:21]
	;; [unrolled: 1-line block ×8, first 2 shown]
	v_fma_f64 v[10:11], v[10:11], -0.5, v[2:3]
	v_fma_f64 v[2:3], v[16:17], -0.5, v[2:3]
	v_add_f64_e64 v[16:17], v[14:15], -v[30:31]
	v_fma_f64 v[18:19], v[18:19], -0.5, v[0:1]
	v_add_f64_e32 v[12:13], v[34:35], v[12:13]
	v_fma_f64 v[0:1], v[22:23], -0.5, v[0:1]
	v_add_f64_e64 v[22:23], v[14:15], -v[6:7]
	v_add_f64_e64 v[6:7], v[6:7], -v[14:15]
	v_add_f64_e32 v[14:15], v[28:29], v[14:15]
	v_fma_f64 v[28:29], v[24:25], s[10:11], v[10:11]
	v_fma_f64 v[34:35], v[26:27], s[2:3], v[2:3]
	;; [unrolled: 1-line block ×8, first 2 shown]
	v_add_f64_e32 v[22:23], v[22:23], v[38:39]
	v_add_f64_e32 v[38:39], v[6:7], v[40:41]
	;; [unrolled: 1-line block ×6, first 2 shown]
	v_fma_f64 v[12:13], v[26:27], s[16:17], v[28:29]
	v_fma_f64 v[14:15], v[24:25], s[16:17], v[34:35]
	;; [unrolled: 1-line block ×8, first 2 shown]
	v_add_f64_e32 v[2:3], v[4:5], v[32:33]
	v_add_f64_e32 v[0:1], v[6:7], v[8:9]
	v_fma_f64 v[6:7], v[22:23], s[18:19], v[12:13]
	v_fma_f64 v[14:15], v[38:39], s[18:19], v[14:15]
	;; [unrolled: 1-line block ×8, first 2 shown]
	ds_store_b128 v173, v[0:3] offset:880
	ds_store_b128 v173, v[16:19] offset:2464
	;; [unrolled: 1-line block ×5, first 2 shown]
.LBB0_21:
	s_wait_alu 0xfffe
	s_or_b32 exec_lo, exec_lo, s1
	global_wb scope:SCOPE_SE
	s_wait_dscnt 0x0
	s_barrier_signal -1
	s_barrier_wait -1
	global_inv scope:SCOPE_SE
	s_and_b32 exec_lo, exec_lo, vcc_lo
	s_cbranch_execz .LBB0_23
; %bb.22:
	s_clause 0xa
	global_load_b128 v[0:3], v173, s[12:13]
	global_load_b128 v[4:7], v173, s[12:13] offset:720
	global_load_b128 v[8:11], v173, s[12:13] offset:1440
	;; [unrolled: 1-line block ×10, first 2 shown]
	v_mad_co_u64_u32 v[88:89], null, s6, v112, 0
	v_mad_co_u64_u32 v[90:91], null, s4, v174, 0
	ds_load_b128 v[44:47], v173
	ds_load_b128 v[48:51], v173 offset:720
	ds_load_b128 v[52:55], v173 offset:1440
	;; [unrolled: 1-line block ×3, first 2 shown]
	s_mul_u64 s[0:1], s[4:5], 0x2d0
	s_mov_b32 s2, 0xb37565e2
	v_mov_b32_e32 v60, v89
	s_mov_b32 s3, 0x3f608cab
	v_mov_b32_e32 v68, v91
	s_delay_alu instid0(VALU_DEP_2)
	v_mad_co_u64_u32 v[76:77], null, s7, v112, v[60:61]
	ds_load_b128 v[60:63], v173 offset:2880
	ds_load_b128 v[64:67], v173 offset:3600
	v_mad_co_u64_u32 v[91:92], null, s5, v174, v[68:69]
	ds_load_b128 v[68:71], v173 offset:4320
	ds_load_b128 v[72:75], v173 offset:5040
	v_mov_b32_e32 v89, v76
	ds_load_b128 v[76:79], v173 offset:5760
	ds_load_b128 v[80:83], v173 offset:6480
	;; [unrolled: 1-line block ×3, first 2 shown]
	v_lshlrev_b64_e32 v[90:91], 4, v[90:91]
	v_lshlrev_b64_e32 v[88:89], 4, v[88:89]
	s_delay_alu instid0(VALU_DEP_1) | instskip(NEXT) | instid1(VALU_DEP_2)
	v_add_co_u32 v88, vcc_lo, s8, v88
	v_add_co_ci_u32_e32 v89, vcc_lo, s9, v89, vcc_lo
	s_delay_alu instid0(VALU_DEP_2) | instskip(SKIP_1) | instid1(VALU_DEP_2)
	v_add_co_u32 v88, vcc_lo, v88, v90
	s_wait_alu 0xfffd
	v_add_co_ci_u32_e32 v89, vcc_lo, v89, v91, vcc_lo
	s_wait_alu 0xfffe
	s_delay_alu instid0(VALU_DEP_2) | instskip(SKIP_1) | instid1(VALU_DEP_2)
	v_add_co_u32 v90, vcc_lo, v88, s0
	s_wait_alu 0xfffd
	v_add_co_ci_u32_e32 v91, vcc_lo, s1, v89, vcc_lo
	s_wait_loadcnt_dscnt 0xa0a
	v_mul_f64_e32 v[92:93], v[46:47], v[2:3]
	v_mul_f64_e32 v[2:3], v[44:45], v[2:3]
	s_wait_loadcnt_dscnt 0x909
	v_mul_f64_e32 v[94:95], v[50:51], v[6:7]
	v_mul_f64_e32 v[6:7], v[48:49], v[6:7]
	;; [unrolled: 3-line block ×11, first 2 shown]
	v_fma_f64 v[44:45], v[44:45], v[0:1], v[92:93]
	v_fma_f64 v[2:3], v[0:1], v[46:47], -v[2:3]
	v_fma_f64 v[46:47], v[48:49], v[4:5], v[94:95]
	v_fma_f64 v[6:7], v[4:5], v[50:51], -v[6:7]
	;; [unrolled: 2-line block ×11, first 2 shown]
	v_add_co_u32 v66, vcc_lo, v90, s0
	s_wait_alu 0xfffd
	v_add_co_ci_u32_e32 v67, vcc_lo, s1, v91, vcc_lo
	s_delay_alu instid0(VALU_DEP_2) | instskip(SKIP_1) | instid1(VALU_DEP_2)
	v_add_co_u32 v68, vcc_lo, v66, s0
	s_wait_alu 0xfffd
	v_add_co_ci_u32_e32 v69, vcc_lo, s1, v67, vcc_lo
	s_delay_alu instid0(VALU_DEP_2) | instskip(SKIP_1) | instid1(VALU_DEP_2)
	v_add_co_u32 v70, vcc_lo, v68, s0
	s_wait_alu 0xfffd
	v_add_co_ci_u32_e32 v71, vcc_lo, s1, v69, vcc_lo
	v_mul_f64_e32 v[0:1], s[2:3], v[44:45]
	v_mul_f64_e32 v[2:3], s[2:3], v[2:3]
	;; [unrolled: 1-line block ×22, first 2 shown]
	v_add_co_u32 v44, vcc_lo, v70, s0
	s_wait_alu 0xfffd
	v_add_co_ci_u32_e32 v45, vcc_lo, s1, v71, vcc_lo
	s_delay_alu instid0(VALU_DEP_2) | instskip(SKIP_1) | instid1(VALU_DEP_2)
	v_add_co_u32 v46, vcc_lo, v44, s0
	s_wait_alu 0xfffd
	v_add_co_ci_u32_e32 v47, vcc_lo, s1, v45, vcc_lo
	s_delay_alu instid0(VALU_DEP_2) | instskip(SKIP_1) | instid1(VALU_DEP_2)
	;; [unrolled: 4-line block ×5, first 2 shown]
	v_add_co_u32 v54, vcc_lo, v52, s0
	s_wait_alu 0xfffd
	v_add_co_ci_u32_e32 v55, vcc_lo, s1, v53, vcc_lo
	s_clause 0x4
	global_store_b128 v[88:89], v[0:3], off
	global_store_b128 v[90:91], v[4:7], off
	;; [unrolled: 1-line block ×11, first 2 shown]
.LBB0_23:
	s_nop 0
	s_sendmsg sendmsg(MSG_DEALLOC_VGPRS)
	s_endpgm
	.section	.rodata,"a",@progbits
	.p2align	6, 0x0
	.amdhsa_kernel bluestein_single_fwd_len495_dim1_dp_op_CI_CI
		.amdhsa_group_segment_fixed_size 7920
		.amdhsa_private_segment_fixed_size 0
		.amdhsa_kernarg_size 104
		.amdhsa_user_sgpr_count 2
		.amdhsa_user_sgpr_dispatch_ptr 0
		.amdhsa_user_sgpr_queue_ptr 0
		.amdhsa_user_sgpr_kernarg_segment_ptr 1
		.amdhsa_user_sgpr_dispatch_id 0
		.amdhsa_user_sgpr_private_segment_size 0
		.amdhsa_wavefront_size32 1
		.amdhsa_uses_dynamic_stack 0
		.amdhsa_enable_private_segment 0
		.amdhsa_system_sgpr_workgroup_id_x 1
		.amdhsa_system_sgpr_workgroup_id_y 0
		.amdhsa_system_sgpr_workgroup_id_z 0
		.amdhsa_system_sgpr_workgroup_info 0
		.amdhsa_system_vgpr_workitem_id 0
		.amdhsa_next_free_vgpr 225
		.amdhsa_next_free_sgpr 40
		.amdhsa_reserve_vcc 1
		.amdhsa_float_round_mode_32 0
		.amdhsa_float_round_mode_16_64 0
		.amdhsa_float_denorm_mode_32 3
		.amdhsa_float_denorm_mode_16_64 3
		.amdhsa_fp16_overflow 0
		.amdhsa_workgroup_processor_mode 1
		.amdhsa_memory_ordered 1
		.amdhsa_forward_progress 0
		.amdhsa_round_robin_scheduling 0
		.amdhsa_exception_fp_ieee_invalid_op 0
		.amdhsa_exception_fp_denorm_src 0
		.amdhsa_exception_fp_ieee_div_zero 0
		.amdhsa_exception_fp_ieee_overflow 0
		.amdhsa_exception_fp_ieee_underflow 0
		.amdhsa_exception_fp_ieee_inexact 0
		.amdhsa_exception_int_div_zero 0
	.end_amdhsa_kernel
	.text
.Lfunc_end0:
	.size	bluestein_single_fwd_len495_dim1_dp_op_CI_CI, .Lfunc_end0-bluestein_single_fwd_len495_dim1_dp_op_CI_CI
                                        ; -- End function
	.section	.AMDGPU.csdata,"",@progbits
; Kernel info:
; codeLenInByte = 13080
; NumSgprs: 42
; NumVgprs: 225
; ScratchSize: 0
; MemoryBound: 0
; FloatMode: 240
; IeeeMode: 1
; LDSByteSize: 7920 bytes/workgroup (compile time only)
; SGPRBlocks: 5
; VGPRBlocks: 28
; NumSGPRsForWavesPerEU: 42
; NumVGPRsForWavesPerEU: 225
; Occupancy: 6
; WaveLimiterHint : 1
; COMPUTE_PGM_RSRC2:SCRATCH_EN: 0
; COMPUTE_PGM_RSRC2:USER_SGPR: 2
; COMPUTE_PGM_RSRC2:TRAP_HANDLER: 0
; COMPUTE_PGM_RSRC2:TGID_X_EN: 1
; COMPUTE_PGM_RSRC2:TGID_Y_EN: 0
; COMPUTE_PGM_RSRC2:TGID_Z_EN: 0
; COMPUTE_PGM_RSRC2:TIDIG_COMP_CNT: 0
	.text
	.p2alignl 7, 3214868480
	.fill 96, 4, 3214868480
	.type	__hip_cuid_4a1e9d5ba060e275,@object ; @__hip_cuid_4a1e9d5ba060e275
	.section	.bss,"aw",@nobits
	.globl	__hip_cuid_4a1e9d5ba060e275
__hip_cuid_4a1e9d5ba060e275:
	.byte	0                               ; 0x0
	.size	__hip_cuid_4a1e9d5ba060e275, 1

	.ident	"AMD clang version 19.0.0git (https://github.com/RadeonOpenCompute/llvm-project roc-6.4.0 25133 c7fe45cf4b819c5991fe208aaa96edf142730f1d)"
	.section	".note.GNU-stack","",@progbits
	.addrsig
	.addrsig_sym __hip_cuid_4a1e9d5ba060e275
	.amdgpu_metadata
---
amdhsa.kernels:
  - .args:
      - .actual_access:  read_only
        .address_space:  global
        .offset:         0
        .size:           8
        .value_kind:     global_buffer
      - .actual_access:  read_only
        .address_space:  global
        .offset:         8
        .size:           8
        .value_kind:     global_buffer
      - .actual_access:  read_only
        .address_space:  global
        .offset:         16
        .size:           8
        .value_kind:     global_buffer
      - .actual_access:  read_only
        .address_space:  global
        .offset:         24
        .size:           8
        .value_kind:     global_buffer
      - .actual_access:  read_only
        .address_space:  global
        .offset:         32
        .size:           8
        .value_kind:     global_buffer
      - .offset:         40
        .size:           8
        .value_kind:     by_value
      - .address_space:  global
        .offset:         48
        .size:           8
        .value_kind:     global_buffer
      - .address_space:  global
        .offset:         56
        .size:           8
        .value_kind:     global_buffer
      - .address_space:  global
        .offset:         64
        .size:           8
        .value_kind:     global_buffer
      - .address_space:  global
        .offset:         72
        .size:           8
        .value_kind:     global_buffer
      - .offset:         80
        .size:           4
        .value_kind:     by_value
      - .address_space:  global
        .offset:         88
        .size:           8
        .value_kind:     global_buffer
      - .address_space:  global
        .offset:         96
        .size:           8
        .value_kind:     global_buffer
    .group_segment_fixed_size: 7920
    .kernarg_segment_align: 8
    .kernarg_segment_size: 104
    .language:       OpenCL C
    .language_version:
      - 2
      - 0
    .max_flat_workgroup_size: 55
    .name:           bluestein_single_fwd_len495_dim1_dp_op_CI_CI
    .private_segment_fixed_size: 0
    .sgpr_count:     42
    .sgpr_spill_count: 0
    .symbol:         bluestein_single_fwd_len495_dim1_dp_op_CI_CI.kd
    .uniform_work_group_size: 1
    .uses_dynamic_stack: false
    .vgpr_count:     225
    .vgpr_spill_count: 0
    .wavefront_size: 32
    .workgroup_processor_mode: 1
amdhsa.target:   amdgcn-amd-amdhsa--gfx1201
amdhsa.version:
  - 1
  - 2
...

	.end_amdgpu_metadata
